;; amdgpu-corpus repo=ROCm/hip-tests kind=compiled arch=gfx1030 opt=O3
	.amdgcn_target "amdgcn-amd-amdhsa--gfx1030"
	.amdhsa_code_object_version 6
	.text
	.p2align	2                               ; -- Begin function __ockl_fprintf_append_string_n
	.type	__ockl_fprintf_append_string_n,@function
__ockl_fprintf_append_string_n:         ; @__ockl_fprintf_append_string_n
; %bb.0:
	s_waitcnt vmcnt(0) expcnt(0) lgkmcnt(0)
	v_mov_b32_e32 v7, v2
	v_or_b32_e32 v2, 2, v0
	v_cmp_eq_u32_e32 vcc_lo, 0, v6
	v_mov_b32_e32 v8, v3
	v_mbcnt_lo_u32_b32 v33, -1, 0
	s_mov_b32 s15, 0
	s_mov_b32 s4, exec_lo
	v_cndmask_b32_e32 v0, v2, v0, vcc_lo
	v_cmpx_ne_u64_e32 0, v[7:8]
	s_xor_b32 s14, exec_lo, s4
	s_cbranch_execz .LBB0_86
; %bb.1:
	s_load_dwordx2 s[6:7], s[8:9], 0x50
	v_and_b32_e32 v6, 2, v0
	v_mov_b32_e32 v10, 0
	v_and_b32_e32 v0, -3, v0
	v_mov_b32_e32 v11, 2
	v_mov_b32_e32 v12, 1
	s_mov_b32 s16, 0
	s_branch .LBB0_3
.LBB0_2:                                ;   in Loop: Header=BB0_3 Depth=1
	s_or_b32 exec_lo, exec_lo, s12
	v_sub_co_u32 v4, vcc_lo, v4, v29
	v_sub_co_ci_u32_e64 v5, null, v5, v30, vcc_lo
	v_add_co_u32 v7, s4, v7, v29
	v_add_co_ci_u32_e64 v8, null, v8, v30, s4
	v_cmp_eq_u64_e32 vcc_lo, 0, v[4:5]
	s_or_b32 s16, vcc_lo, s16
	s_andn2_b32 exec_lo, exec_lo, s16
	s_cbranch_execz .LBB0_85
.LBB0_3:                                ; =>This Loop Header: Depth=1
                                        ;     Child Loop BB0_6 Depth 2
                                        ;     Child Loop BB0_14 Depth 2
	;; [unrolled: 1-line block ×11, first 2 shown]
	v_cmp_gt_u64_e32 vcc_lo, 56, v[4:5]
	s_mov_b32 s5, exec_lo
	v_cndmask_b32_e32 v30, 0, v5, vcc_lo
	v_cndmask_b32_e32 v29, 56, v4, vcc_lo
	v_add_co_u32 v15, vcc_lo, v7, 8
	v_add_co_ci_u32_e64 v16, null, 0, v8, vcc_lo
	v_cmpx_gt_u64_e32 8, v[4:5]
	s_xor_b32 s5, exec_lo, s5
	s_cbranch_execz .LBB0_9
; %bb.4:                                ;   in Loop: Header=BB0_3 Depth=1
	s_waitcnt vmcnt(0)
	v_mov_b32_e32 v2, 0
	v_mov_b32_e32 v3, 0
	s_mov_b32 s12, exec_lo
	v_cmpx_ne_u64_e32 0, v[4:5]
	s_cbranch_execz .LBB0_8
; %bb.5:                                ;   in Loop: Header=BB0_3 Depth=1
	v_lshlrev_b64 v[13:14], 3, v[29:30]
	v_mov_b32_e32 v2, 0
	v_mov_b32_e32 v15, v8
	;; [unrolled: 1-line block ×4, first 2 shown]
	s_mov_b64 s[10:11], 0
	s_mov_b32 s13, 0
	.p2align	6
.LBB0_6:                                ;   Parent Loop BB0_3 Depth=1
                                        ; =>  This Inner Loop Header: Depth=2
	global_load_ubyte v9, v[14:15], off
	v_mov_b32_e32 v17, s15
	v_add_co_u32 v14, vcc_lo, v14, 1
	v_add_co_ci_u32_e64 v15, null, 0, v15, vcc_lo
	s_waitcnt vmcnt(0)
	v_and_b32_e32 v16, 0xffff, v9
	v_lshlrev_b64 v[16:17], s10, v[16:17]
	s_add_u32 s10, s10, 8
	s_addc_u32 s11, s11, 0
	v_cmp_eq_u32_e64 s4, s10, v13
	v_or_b32_e32 v3, v17, v3
	v_or_b32_e32 v2, v16, v2
	s_or_b32 s13, s4, s13
	s_andn2_b32 exec_lo, exec_lo, s13
	s_cbranch_execnz .LBB0_6
; %bb.7:                                ;   in Loop: Header=BB0_3 Depth=1
	s_or_b32 exec_lo, exec_lo, s13
.LBB0_8:                                ;   in Loop: Header=BB0_3 Depth=1
	s_or_b32 exec_lo, exec_lo, s12
	v_mov_b32_e32 v16, v8
	v_mov_b32_e32 v15, v7
.LBB0_9:                                ;   in Loop: Header=BB0_3 Depth=1
	s_or_saveexec_b32 s4, s5
	v_mov_b32_e32 v9, 0
	s_xor_b32 exec_lo, exec_lo, s4
	s_cbranch_execz .LBB0_11
; %bb.10:                               ;   in Loop: Header=BB0_3 Depth=1
	global_load_dwordx2 v[2:3], v[7:8], off
	v_add_nc_u32_e32 v9, -8, v29
.LBB0_11:                               ;   in Loop: Header=BB0_3 Depth=1
	s_or_b32 exec_lo, exec_lo, s4
	v_add_co_u32 v17, s4, v15, 8
	v_add_co_ci_u32_e64 v18, null, 0, v16, s4
                                        ; implicit-def: $vgpr13_vgpr14
	s_mov_b32 s4, exec_lo
	v_cmpx_gt_u32_e32 8, v9
	s_xor_b32 s12, exec_lo, s4
	s_cbranch_execz .LBB0_17
; %bb.12:                               ;   in Loop: Header=BB0_3 Depth=1
	v_mov_b32_e32 v13, 0
	v_mov_b32_e32 v14, 0
	s_mov_b32 s13, exec_lo
	v_cmpx_ne_u32_e32 0, v9
	s_cbranch_execz .LBB0_16
; %bb.13:                               ;   in Loop: Header=BB0_3 Depth=1
	v_mov_b32_e32 v13, 0
	v_mov_b32_e32 v14, 0
	s_mov_b64 s[4:5], 0
	s_mov_b32 s17, 0
	s_mov_b64 s[10:11], 0
	.p2align	6
.LBB0_14:                               ;   Parent Loop BB0_3 Depth=1
                                        ; =>  This Inner Loop Header: Depth=2
	v_add_co_u32 v17, vcc_lo, v15, s10
	v_add_co_ci_u32_e64 v18, null, s11, v16, vcc_lo
	s_add_u32 s10, s10, 1
	s_addc_u32 s11, s11, 0
	v_cmp_eq_u32_e32 vcc_lo, s10, v9
	global_load_ubyte v17, v[17:18], off
	v_mov_b32_e32 v18, s15
	s_waitcnt vmcnt(0)
	v_and_b32_e32 v17, 0xffff, v17
	v_lshlrev_b64 v[17:18], s4, v[17:18]
	s_add_u32 s4, s4, 8
	s_addc_u32 s5, s5, 0
	s_or_b32 s17, vcc_lo, s17
	v_or_b32_e32 v14, v18, v14
	v_or_b32_e32 v13, v17, v13
	s_andn2_b32 exec_lo, exec_lo, s17
	s_cbranch_execnz .LBB0_14
; %bb.15:                               ;   in Loop: Header=BB0_3 Depth=1
	s_or_b32 exec_lo, exec_lo, s17
.LBB0_16:                               ;   in Loop: Header=BB0_3 Depth=1
	s_or_b32 exec_lo, exec_lo, s13
	v_mov_b32_e32 v18, v16
	v_mov_b32_e32 v17, v15
                                        ; implicit-def: $vgpr9
.LBB0_17:                               ;   in Loop: Header=BB0_3 Depth=1
	s_or_saveexec_b32 s4, s12
	v_mov_b32_e32 v21, 0
	s_xor_b32 exec_lo, exec_lo, s4
	s_cbranch_execz .LBB0_19
; %bb.18:                               ;   in Loop: Header=BB0_3 Depth=1
	global_load_dwordx2 v[13:14], v[15:16], off
	v_add_nc_u32_e32 v21, -8, v9
.LBB0_19:                               ;   in Loop: Header=BB0_3 Depth=1
	s_or_b32 exec_lo, exec_lo, s4
	v_add_co_u32 v19, s4, v17, 8
	v_add_co_ci_u32_e64 v20, null, 0, v18, s4
	s_mov_b32 s4, exec_lo
	v_cmpx_gt_u32_e32 8, v21
	s_xor_b32 s12, exec_lo, s4
	s_cbranch_execz .LBB0_25
; %bb.20:                               ;   in Loop: Header=BB0_3 Depth=1
	v_mov_b32_e32 v15, 0
	v_mov_b32_e32 v16, 0
	s_mov_b32 s13, exec_lo
	v_cmpx_ne_u32_e32 0, v21
	s_cbranch_execz .LBB0_24
; %bb.21:                               ;   in Loop: Header=BB0_3 Depth=1
	v_mov_b32_e32 v15, 0
	v_mov_b32_e32 v16, 0
	s_mov_b64 s[4:5], 0
	s_mov_b32 s17, 0
	s_mov_b64 s[10:11], 0
	.p2align	6
.LBB0_22:                               ;   Parent Loop BB0_3 Depth=1
                                        ; =>  This Inner Loop Header: Depth=2
	v_add_co_u32 v19, vcc_lo, v17, s10
	v_add_co_ci_u32_e64 v20, null, s11, v18, vcc_lo
	s_add_u32 s10, s10, 1
	s_addc_u32 s11, s11, 0
	v_cmp_eq_u32_e32 vcc_lo, s10, v21
	global_load_ubyte v9, v[19:20], off
	v_mov_b32_e32 v20, s15
	s_waitcnt vmcnt(0)
	v_and_b32_e32 v19, 0xffff, v9
	v_lshlrev_b64 v[19:20], s4, v[19:20]
	s_add_u32 s4, s4, 8
	s_addc_u32 s5, s5, 0
	s_or_b32 s17, vcc_lo, s17
	v_or_b32_e32 v16, v20, v16
	v_or_b32_e32 v15, v19, v15
	s_andn2_b32 exec_lo, exec_lo, s17
	s_cbranch_execnz .LBB0_22
; %bb.23:                               ;   in Loop: Header=BB0_3 Depth=1
	s_or_b32 exec_lo, exec_lo, s17
.LBB0_24:                               ;   in Loop: Header=BB0_3 Depth=1
	s_or_b32 exec_lo, exec_lo, s13
	v_mov_b32_e32 v20, v18
	v_mov_b32_e32 v19, v17
                                        ; implicit-def: $vgpr21
.LBB0_25:                               ;   in Loop: Header=BB0_3 Depth=1
	s_or_saveexec_b32 s4, s12
	v_mov_b32_e32 v9, 0
	s_xor_b32 exec_lo, exec_lo, s4
	s_cbranch_execz .LBB0_27
; %bb.26:                               ;   in Loop: Header=BB0_3 Depth=1
	global_load_dwordx2 v[15:16], v[17:18], off
	v_add_nc_u32_e32 v9, -8, v21
.LBB0_27:                               ;   in Loop: Header=BB0_3 Depth=1
	s_or_b32 exec_lo, exec_lo, s4
	v_add_co_u32 v21, s4, v19, 8
	v_add_co_ci_u32_e64 v22, null, 0, v20, s4
                                        ; implicit-def: $vgpr17_vgpr18
	s_mov_b32 s4, exec_lo
	v_cmpx_gt_u32_e32 8, v9
	s_xor_b32 s12, exec_lo, s4
	s_cbranch_execz .LBB0_33
; %bb.28:                               ;   in Loop: Header=BB0_3 Depth=1
	v_mov_b32_e32 v17, 0
	v_mov_b32_e32 v18, 0
	s_mov_b32 s13, exec_lo
	v_cmpx_ne_u32_e32 0, v9
	s_cbranch_execz .LBB0_32
; %bb.29:                               ;   in Loop: Header=BB0_3 Depth=1
	v_mov_b32_e32 v17, 0
	v_mov_b32_e32 v18, 0
	s_mov_b64 s[4:5], 0
	s_mov_b32 s17, 0
	s_mov_b64 s[10:11], 0
	.p2align	6
.LBB0_30:                               ;   Parent Loop BB0_3 Depth=1
                                        ; =>  This Inner Loop Header: Depth=2
	v_add_co_u32 v21, vcc_lo, v19, s10
	v_add_co_ci_u32_e64 v22, null, s11, v20, vcc_lo
	s_add_u32 s10, s10, 1
	s_addc_u32 s11, s11, 0
	v_cmp_eq_u32_e32 vcc_lo, s10, v9
	global_load_ubyte v21, v[21:22], off
	v_mov_b32_e32 v22, s15
	s_waitcnt vmcnt(0)
	v_and_b32_e32 v21, 0xffff, v21
	v_lshlrev_b64 v[21:22], s4, v[21:22]
	s_add_u32 s4, s4, 8
	s_addc_u32 s5, s5, 0
	s_or_b32 s17, vcc_lo, s17
	v_or_b32_e32 v18, v22, v18
	v_or_b32_e32 v17, v21, v17
	s_andn2_b32 exec_lo, exec_lo, s17
	s_cbranch_execnz .LBB0_30
; %bb.31:                               ;   in Loop: Header=BB0_3 Depth=1
	s_or_b32 exec_lo, exec_lo, s17
.LBB0_32:                               ;   in Loop: Header=BB0_3 Depth=1
	s_or_b32 exec_lo, exec_lo, s13
	v_mov_b32_e32 v22, v20
	v_mov_b32_e32 v21, v19
                                        ; implicit-def: $vgpr9
.LBB0_33:                               ;   in Loop: Header=BB0_3 Depth=1
	s_or_saveexec_b32 s4, s12
	v_mov_b32_e32 v25, 0
	s_xor_b32 exec_lo, exec_lo, s4
	s_cbranch_execz .LBB0_35
; %bb.34:                               ;   in Loop: Header=BB0_3 Depth=1
	global_load_dwordx2 v[17:18], v[19:20], off
	v_add_nc_u32_e32 v25, -8, v9
.LBB0_35:                               ;   in Loop: Header=BB0_3 Depth=1
	s_or_b32 exec_lo, exec_lo, s4
	v_add_co_u32 v23, s4, v21, 8
	v_add_co_ci_u32_e64 v24, null, 0, v22, s4
	s_mov_b32 s4, exec_lo
	v_cmpx_gt_u32_e32 8, v25
	s_xor_b32 s12, exec_lo, s4
	s_cbranch_execz .LBB0_41
; %bb.36:                               ;   in Loop: Header=BB0_3 Depth=1
	v_mov_b32_e32 v19, 0
	v_mov_b32_e32 v20, 0
	s_mov_b32 s13, exec_lo
	v_cmpx_ne_u32_e32 0, v25
	s_cbranch_execz .LBB0_40
; %bb.37:                               ;   in Loop: Header=BB0_3 Depth=1
	v_mov_b32_e32 v19, 0
	v_mov_b32_e32 v20, 0
	s_mov_b64 s[4:5], 0
	s_mov_b32 s17, 0
	s_mov_b64 s[10:11], 0
	.p2align	6
.LBB0_38:                               ;   Parent Loop BB0_3 Depth=1
                                        ; =>  This Inner Loop Header: Depth=2
	v_add_co_u32 v23, vcc_lo, v21, s10
	v_add_co_ci_u32_e64 v24, null, s11, v22, vcc_lo
	s_add_u32 s10, s10, 1
	s_addc_u32 s11, s11, 0
	v_cmp_eq_u32_e32 vcc_lo, s10, v25
	global_load_ubyte v9, v[23:24], off
	v_mov_b32_e32 v24, s15
	s_waitcnt vmcnt(0)
	v_and_b32_e32 v23, 0xffff, v9
	v_lshlrev_b64 v[23:24], s4, v[23:24]
	s_add_u32 s4, s4, 8
	s_addc_u32 s5, s5, 0
	s_or_b32 s17, vcc_lo, s17
	v_or_b32_e32 v20, v24, v20
	v_or_b32_e32 v19, v23, v19
	s_andn2_b32 exec_lo, exec_lo, s17
	s_cbranch_execnz .LBB0_38
; %bb.39:                               ;   in Loop: Header=BB0_3 Depth=1
	s_or_b32 exec_lo, exec_lo, s17
.LBB0_40:                               ;   in Loop: Header=BB0_3 Depth=1
	s_or_b32 exec_lo, exec_lo, s13
	v_mov_b32_e32 v24, v22
	v_mov_b32_e32 v23, v21
                                        ; implicit-def: $vgpr25
.LBB0_41:                               ;   in Loop: Header=BB0_3 Depth=1
	s_or_saveexec_b32 s4, s12
	v_mov_b32_e32 v9, 0
	s_xor_b32 exec_lo, exec_lo, s4
	s_cbranch_execz .LBB0_43
; %bb.42:                               ;   in Loop: Header=BB0_3 Depth=1
	global_load_dwordx2 v[19:20], v[21:22], off
	v_add_nc_u32_e32 v9, -8, v25
.LBB0_43:                               ;   in Loop: Header=BB0_3 Depth=1
	s_or_b32 exec_lo, exec_lo, s4
	v_add_co_u32 v25, s4, v23, 8
	v_add_co_ci_u32_e64 v26, null, 0, v24, s4
                                        ; implicit-def: $vgpr21_vgpr22
	s_mov_b32 s4, exec_lo
	v_cmpx_gt_u32_e32 8, v9
	s_xor_b32 s12, exec_lo, s4
	s_cbranch_execz .LBB0_49
; %bb.44:                               ;   in Loop: Header=BB0_3 Depth=1
	v_mov_b32_e32 v21, 0
	v_mov_b32_e32 v22, 0
	s_mov_b32 s13, exec_lo
	v_cmpx_ne_u32_e32 0, v9
	s_cbranch_execz .LBB0_48
; %bb.45:                               ;   in Loop: Header=BB0_3 Depth=1
	v_mov_b32_e32 v21, 0
	v_mov_b32_e32 v22, 0
	s_mov_b64 s[4:5], 0
	s_mov_b32 s17, 0
	s_mov_b64 s[10:11], 0
	.p2align	6
.LBB0_46:                               ;   Parent Loop BB0_3 Depth=1
                                        ; =>  This Inner Loop Header: Depth=2
	v_add_co_u32 v25, vcc_lo, v23, s10
	v_add_co_ci_u32_e64 v26, null, s11, v24, vcc_lo
	s_add_u32 s10, s10, 1
	s_addc_u32 s11, s11, 0
	v_cmp_eq_u32_e32 vcc_lo, s10, v9
	global_load_ubyte v25, v[25:26], off
	v_mov_b32_e32 v26, s15
	s_waitcnt vmcnt(0)
	v_and_b32_e32 v25, 0xffff, v25
	v_lshlrev_b64 v[25:26], s4, v[25:26]
	s_add_u32 s4, s4, 8
	s_addc_u32 s5, s5, 0
	s_or_b32 s17, vcc_lo, s17
	v_or_b32_e32 v22, v26, v22
	v_or_b32_e32 v21, v25, v21
	s_andn2_b32 exec_lo, exec_lo, s17
	s_cbranch_execnz .LBB0_46
; %bb.47:                               ;   in Loop: Header=BB0_3 Depth=1
	s_or_b32 exec_lo, exec_lo, s17
.LBB0_48:                               ;   in Loop: Header=BB0_3 Depth=1
	s_or_b32 exec_lo, exec_lo, s13
	v_mov_b32_e32 v26, v24
	v_mov_b32_e32 v25, v23
                                        ; implicit-def: $vgpr9
.LBB0_49:                               ;   in Loop: Header=BB0_3 Depth=1
	s_or_saveexec_b32 s4, s12
	v_mov_b32_e32 v27, 0
	s_xor_b32 exec_lo, exec_lo, s4
	s_cbranch_execz .LBB0_51
; %bb.50:                               ;   in Loop: Header=BB0_3 Depth=1
	global_load_dwordx2 v[21:22], v[23:24], off
	v_add_nc_u32_e32 v27, -8, v9
.LBB0_51:                               ;   in Loop: Header=BB0_3 Depth=1
	s_or_b32 exec_lo, exec_lo, s4
	s_mov_b32 s4, exec_lo
	v_cmpx_gt_u32_e32 8, v27
	s_xor_b32 s10, exec_lo, s4
	s_cbranch_execz .LBB0_57
; %bb.52:                               ;   in Loop: Header=BB0_3 Depth=1
	v_mov_b32_e32 v23, 0
	v_mov_b32_e32 v24, 0
	s_mov_b32 s11, exec_lo
	v_cmpx_ne_u32_e32 0, v27
	s_cbranch_execz .LBB0_56
; %bb.53:                               ;   in Loop: Header=BB0_3 Depth=1
	v_mov_b32_e32 v23, 0
	v_mov_b32_e32 v24, 0
	s_mov_b64 s[4:5], 0
	s_mov_b32 s12, 0
	.p2align	6
.LBB0_54:                               ;   Parent Loop BB0_3 Depth=1
                                        ; =>  This Inner Loop Header: Depth=2
	global_load_ubyte v9, v[25:26], off
	v_mov_b32_e32 v32, s15
	v_add_nc_u32_e32 v27, -1, v27
	v_add_co_u32 v25, vcc_lo, v25, 1
	v_add_co_ci_u32_e64 v26, null, 0, v26, vcc_lo
	v_cmp_eq_u32_e32 vcc_lo, 0, v27
	s_waitcnt vmcnt(0)
	v_and_b32_e32 v31, 0xffff, v9
	v_lshlrev_b64 v[31:32], s4, v[31:32]
	s_add_u32 s4, s4, 8
	s_addc_u32 s5, s5, 0
	s_or_b32 s12, vcc_lo, s12
	v_or_b32_e32 v24, v32, v24
	v_or_b32_e32 v23, v31, v23
	s_andn2_b32 exec_lo, exec_lo, s12
	s_cbranch_execnz .LBB0_54
; %bb.55:                               ;   in Loop: Header=BB0_3 Depth=1
	s_or_b32 exec_lo, exec_lo, s12
.LBB0_56:                               ;   in Loop: Header=BB0_3 Depth=1
	s_or_b32 exec_lo, exec_lo, s11
                                        ; implicit-def: $vgpr25_vgpr26
.LBB0_57:                               ;   in Loop: Header=BB0_3 Depth=1
	s_andn2_saveexec_b32 s4, s10
	s_cbranch_execz .LBB0_59
; %bb.58:                               ;   in Loop: Header=BB0_3 Depth=1
	global_load_dwordx2 v[23:24], v[25:26], off
.LBB0_59:                               ;   in Loop: Header=BB0_3 Depth=1
	s_or_b32 exec_lo, exec_lo, s4
	v_readfirstlane_b32 s4, v33
	v_mov_b32_e32 v31, 0
	v_mov_b32_e32 v32, 0
	v_cmp_eq_u32_e64 s4, s4, v33
	s_and_saveexec_b32 s5, s4
	s_cbranch_execz .LBB0_65
; %bb.60:                               ;   in Loop: Header=BB0_3 Depth=1
	s_waitcnt lgkmcnt(0)
	global_load_dwordx2 v[27:28], v10, s[6:7] offset:24 glc dlc
	s_waitcnt vmcnt(0)
	buffer_gl1_inv
	buffer_gl0_inv
	s_clause 0x1
	global_load_dwordx2 v[25:26], v10, s[6:7] offset:40
	global_load_dwordx2 v[31:32], v10, s[6:7]
	s_mov_b32 s10, exec_lo
	s_waitcnt vmcnt(1)
	v_and_b32_e32 v9, v26, v28
	v_and_b32_e32 v25, v25, v27
	v_mul_lo_u32 v9, v9, 24
	v_mul_hi_u32 v26, v25, 24
	v_mul_lo_u32 v25, v25, 24
	v_add_nc_u32_e32 v9, v26, v9
	s_waitcnt vmcnt(0)
	v_add_co_u32 v25, vcc_lo, v31, v25
	v_add_co_ci_u32_e64 v26, null, v32, v9, vcc_lo
	global_load_dwordx2 v[25:26], v[25:26], off glc dlc
	s_waitcnt vmcnt(0)
	global_atomic_cmpswap_x2 v[31:32], v10, v[25:28], s[6:7] offset:24 glc
	s_waitcnt vmcnt(0)
	buffer_gl1_inv
	buffer_gl0_inv
	v_cmpx_ne_u64_e64 v[31:32], v[27:28]
	s_cbranch_execz .LBB0_64
; %bb.61:                               ;   in Loop: Header=BB0_3 Depth=1
	s_mov_b32 s11, 0
	.p2align	6
.LBB0_62:                               ;   Parent Loop BB0_3 Depth=1
                                        ; =>  This Inner Loop Header: Depth=2
	s_sleep 1
	s_clause 0x1
	global_load_dwordx2 v[25:26], v10, s[6:7] offset:40
	global_load_dwordx2 v[34:35], v10, s[6:7]
	v_mov_b32_e32 v27, v31
	v_mov_b32_e32 v28, v32
	s_waitcnt vmcnt(1)
	v_and_b32_e32 v9, v25, v27
	v_and_b32_e32 v25, v26, v28
	s_waitcnt vmcnt(0)
	v_mad_u64_u32 v[31:32], null, v9, 24, v[34:35]
	v_mov_b32_e32 v9, v32
	v_mad_u64_u32 v[25:26], null, v25, 24, v[9:10]
	v_mov_b32_e32 v32, v25
	global_load_dwordx2 v[25:26], v[31:32], off glc dlc
	s_waitcnt vmcnt(0)
	global_atomic_cmpswap_x2 v[31:32], v10, v[25:28], s[6:7] offset:24 glc
	s_waitcnt vmcnt(0)
	buffer_gl1_inv
	buffer_gl0_inv
	v_cmp_eq_u64_e32 vcc_lo, v[31:32], v[27:28]
	s_or_b32 s11, vcc_lo, s11
	s_andn2_b32 exec_lo, exec_lo, s11
	s_cbranch_execnz .LBB0_62
; %bb.63:                               ;   in Loop: Header=BB0_3 Depth=1
	s_or_b32 exec_lo, exec_lo, s11
.LBB0_64:                               ;   in Loop: Header=BB0_3 Depth=1
	s_or_b32 exec_lo, exec_lo, s10
.LBB0_65:                               ;   in Loop: Header=BB0_3 Depth=1
	s_or_b32 exec_lo, exec_lo, s5
	s_waitcnt lgkmcnt(0)
	s_clause 0x1
	global_load_dwordx2 v[34:35], v10, s[6:7] offset:40
	global_load_dwordx4 v[25:28], v10, s[6:7]
	v_readfirstlane_b32 s11, v32
	v_readfirstlane_b32 s10, v31
	s_mov_b32 s5, exec_lo
	s_waitcnt vmcnt(1)
	v_readfirstlane_b32 s12, v34
	v_readfirstlane_b32 s13, v35
	s_and_b64 s[12:13], s[12:13], s[10:11]
	s_mul_i32 s17, s13, 24
	s_mul_hi_u32 s18, s12, 24
	s_mul_i32 s19, s12, 24
	s_add_i32 s18, s18, s17
	s_waitcnt vmcnt(0)
	v_add_co_u32 v31, vcc_lo, v25, s19
	v_add_co_ci_u32_e64 v32, null, s18, v26, vcc_lo
	s_and_saveexec_b32 s17, s4
	s_cbranch_execz .LBB0_67
; %bb.66:                               ;   in Loop: Header=BB0_3 Depth=1
	v_mov_b32_e32 v9, s5
	global_store_dwordx4 v[31:32], v[9:12], off offset:8
.LBB0_67:                               ;   in Loop: Header=BB0_3 Depth=1
	s_or_b32 exec_lo, exec_lo, s17
	v_cmp_gt_u64_e32 vcc_lo, 57, v[4:5]
	s_lshl_b64 s[12:13], s[12:13], 12
	v_and_b32_e32 v0, 0xffffff1f, v0
	v_lshl_add_u32 v35, v29, 2, 28
	v_lshlrev_b32_e32 v34, 6, v33
	v_cndmask_b32_e32 v9, 0, v6, vcc_lo
	v_add_co_u32 v27, vcc_lo, v27, s12
	v_add_co_ci_u32_e64 v28, null, s13, v28, vcc_lo
	v_or_b32_e32 v0, v0, v9
	v_readfirstlane_b32 s12, v27
	v_readfirstlane_b32 s13, v28
	v_and_or_b32 v0, 0x1e0, v35, v0
	global_store_dwordx4 v34, v[13:16], s[12:13] offset:16
	global_store_dwordx4 v34, v[0:3], s[12:13]
	global_store_dwordx4 v34, v[17:20], s[12:13] offset:32
	global_store_dwordx4 v34, v[21:24], s[12:13] offset:48
	s_and_saveexec_b32 s5, s4
	s_cbranch_execz .LBB0_75
; %bb.68:                               ;   in Loop: Header=BB0_3 Depth=1
	s_clause 0x1
	global_load_dwordx2 v[17:18], v10, s[6:7] offset:32 glc dlc
	global_load_dwordx2 v[0:1], v10, s[6:7] offset:40
	v_mov_b32_e32 v15, s10
	v_mov_b32_e32 v16, s11
	s_waitcnt vmcnt(0)
	v_readfirstlane_b32 s12, v0
	v_readfirstlane_b32 s13, v1
	s_and_b64 s[12:13], s[12:13], s[10:11]
	s_mul_i32 s13, s13, 24
	s_mul_hi_u32 s17, s12, 24
	s_mul_i32 s12, s12, 24
	s_add_i32 s17, s17, s13
	v_add_co_u32 v13, vcc_lo, v25, s12
	v_add_co_ci_u32_e64 v14, null, s17, v26, vcc_lo
	s_mov_b32 s12, exec_lo
	global_store_dwordx2 v[13:14], v[17:18], off
	s_waitcnt_vscnt null, 0x0
	global_atomic_cmpswap_x2 v[2:3], v10, v[15:18], s[6:7] offset:32 glc
	s_waitcnt vmcnt(0)
	v_cmpx_ne_u64_e64 v[2:3], v[17:18]
	s_cbranch_execz .LBB0_71
; %bb.69:                               ;   in Loop: Header=BB0_3 Depth=1
	s_mov_b32 s13, 0
.LBB0_70:                               ;   Parent Loop BB0_3 Depth=1
                                        ; =>  This Inner Loop Header: Depth=2
	v_mov_b32_e32 v0, s10
	v_mov_b32_e32 v1, s11
	s_sleep 1
	global_store_dwordx2 v[13:14], v[2:3], off
	s_waitcnt_vscnt null, 0x0
	global_atomic_cmpswap_x2 v[0:1], v10, v[0:3], s[6:7] offset:32 glc
	s_waitcnt vmcnt(0)
	v_cmp_eq_u64_e32 vcc_lo, v[0:1], v[2:3]
	v_mov_b32_e32 v3, v1
	v_mov_b32_e32 v2, v0
	s_or_b32 s13, vcc_lo, s13
	s_andn2_b32 exec_lo, exec_lo, s13
	s_cbranch_execnz .LBB0_70
.LBB0_71:                               ;   in Loop: Header=BB0_3 Depth=1
	s_or_b32 exec_lo, exec_lo, s12
	global_load_dwordx2 v[0:1], v10, s[6:7] offset:16
	s_mov_b32 s13, exec_lo
	s_mov_b32 s12, exec_lo
	v_mbcnt_lo_u32_b32 v2, s13, 0
	v_cmpx_eq_u32_e32 0, v2
	s_cbranch_execz .LBB0_73
; %bb.72:                               ;   in Loop: Header=BB0_3 Depth=1
	s_bcnt1_i32_b32 s13, s13
	v_mov_b32_e32 v9, s13
	s_waitcnt vmcnt(0)
	global_atomic_add_x2 v[0:1], v[9:10], off offset:8
.LBB0_73:                               ;   in Loop: Header=BB0_3 Depth=1
	s_or_b32 exec_lo, exec_lo, s12
	s_waitcnt vmcnt(0)
	global_load_dwordx2 v[2:3], v[0:1], off offset:16
	s_waitcnt vmcnt(0)
	v_cmp_eq_u64_e32 vcc_lo, 0, v[2:3]
	s_cbranch_vccnz .LBB0_75
; %bb.74:                               ;   in Loop: Header=BB0_3 Depth=1
	global_load_dword v9, v[0:1], off offset:24
	s_waitcnt vmcnt(0)
	v_readfirstlane_b32 s12, v9
	s_waitcnt_vscnt null, 0x0
	global_store_dwordx2 v[2:3], v[9:10], off
	s_and_b32 m0, s12, 0x7fffff
	s_sendmsg sendmsg(MSG_INTERRUPT)
.LBB0_75:                               ;   in Loop: Header=BB0_3 Depth=1
	s_or_b32 exec_lo, exec_lo, s5
	v_add_co_u32 v0, vcc_lo, v27, v34
	v_add_co_ci_u32_e64 v1, null, 0, v28, vcc_lo
	s_branch .LBB0_79
	.p2align	6
.LBB0_76:                               ;   in Loop: Header=BB0_79 Depth=2
	s_or_b32 exec_lo, exec_lo, s5
	v_readfirstlane_b32 s5, v2
	s_cmp_eq_u32 s5, 0
	s_cbranch_scc1 .LBB0_78
; %bb.77:                               ;   in Loop: Header=BB0_79 Depth=2
	s_sleep 1
	s_cbranch_execnz .LBB0_79
	s_branch .LBB0_81
	.p2align	6
.LBB0_78:                               ;   in Loop: Header=BB0_3 Depth=1
	s_branch .LBB0_81
.LBB0_79:                               ;   Parent Loop BB0_3 Depth=1
                                        ; =>  This Inner Loop Header: Depth=2
	v_mov_b32_e32 v2, 1
	s_and_saveexec_b32 s5, s4
	s_cbranch_execz .LBB0_76
; %bb.80:                               ;   in Loop: Header=BB0_79 Depth=2
	global_load_dword v2, v[31:32], off offset:20 glc dlc
	s_waitcnt vmcnt(0)
	buffer_gl1_inv
	buffer_gl0_inv
	v_and_b32_e32 v2, 1, v2
	s_branch .LBB0_76
.LBB0_81:                               ;   in Loop: Header=BB0_3 Depth=1
	global_load_dwordx4 v[0:3], v[0:1], off
	s_and_saveexec_b32 s12, s4
	s_cbranch_execz .LBB0_2
; %bb.82:                               ;   in Loop: Header=BB0_3 Depth=1
	s_clause 0x2
	global_load_dwordx2 v[2:3], v10, s[6:7] offset:40
	global_load_dwordx2 v[17:18], v10, s[6:7] offset:24 glc dlc
	global_load_dwordx2 v[13:14], v10, s[6:7]
	s_waitcnt vmcnt(2)
	v_readfirstlane_b32 s18, v2
	v_readfirstlane_b32 s19, v3
	s_add_u32 s13, s18, 1
	s_addc_u32 s17, s19, 0
	s_add_u32 s4, s13, s10
	s_addc_u32 s5, s17, s11
	s_cmp_eq_u64 s[4:5], 0
	s_cselect_b32 s5, s17, s5
	s_cselect_b32 s4, s13, s4
	v_mov_b32_e32 v16, s5
	s_and_b64 s[10:11], s[4:5], s[18:19]
	v_mov_b32_e32 v15, s4
	s_mul_i32 s11, s11, 24
	s_mul_hi_u32 s13, s10, 24
	s_mul_i32 s10, s10, 24
	s_add_i32 s13, s13, s11
	s_waitcnt vmcnt(0)
	v_add_co_u32 v2, vcc_lo, v13, s10
	v_add_co_ci_u32_e64 v3, null, s13, v14, vcc_lo
	global_store_dwordx2 v[2:3], v[17:18], off
	s_waitcnt_vscnt null, 0x0
	global_atomic_cmpswap_x2 v[15:16], v10, v[15:18], s[6:7] offset:24 glc
	s_waitcnt vmcnt(0)
	v_cmp_ne_u64_e32 vcc_lo, v[15:16], v[17:18]
	s_and_b32 exec_lo, exec_lo, vcc_lo
	s_cbranch_execz .LBB0_2
; %bb.83:                               ;   in Loop: Header=BB0_3 Depth=1
	s_mov_b32 s10, 0
.LBB0_84:                               ;   Parent Loop BB0_3 Depth=1
                                        ; =>  This Inner Loop Header: Depth=2
	v_mov_b32_e32 v13, s4
	v_mov_b32_e32 v14, s5
	s_sleep 1
	global_store_dwordx2 v[2:3], v[15:16], off
	s_waitcnt_vscnt null, 0x0
	global_atomic_cmpswap_x2 v[13:14], v10, v[13:16], s[6:7] offset:24 glc
	s_waitcnt vmcnt(0)
	v_cmp_eq_u64_e32 vcc_lo, v[13:14], v[15:16]
	v_mov_b32_e32 v16, v14
	v_mov_b32_e32 v15, v13
	s_or_b32 s10, vcc_lo, s10
	s_andn2_b32 exec_lo, exec_lo, s10
	s_cbranch_execnz .LBB0_84
	s_branch .LBB0_2
.LBB0_85:
	s_or_b32 exec_lo, exec_lo, s16
                                        ; implicit-def: $vgpr0
                                        ; implicit-def: $vgpr33
                                        ; implicit-def: $vgpr1
.LBB0_86:
	s_andn2_saveexec_b32 s12, s14
	s_cbranch_execz .LBB0_109
; %bb.87:
	s_load_dwordx2 s[6:7], s[8:9], 0x50
	v_readfirstlane_b32 s4, v33
	v_mov_b32_e32 v8, 0
	v_mov_b32_e32 v9, 0
	v_cmp_eq_u32_e64 s4, s4, v33
	s_and_saveexec_b32 s5, s4
	s_cbranch_execz .LBB0_93
; %bb.88:
	s_waitcnt vmcnt(0)
	v_mov_b32_e32 v2, 0
	s_mov_b32 s8, exec_lo
	s_waitcnt lgkmcnt(0)
	global_load_dwordx2 v[5:6], v2, s[6:7] offset:24 glc dlc
	s_waitcnt vmcnt(0)
	buffer_gl1_inv
	buffer_gl0_inv
	s_clause 0x1
	global_load_dwordx2 v[3:4], v2, s[6:7] offset:40
	global_load_dwordx2 v[7:8], v2, s[6:7]
	s_waitcnt vmcnt(1)
	v_and_b32_e32 v4, v4, v6
	v_and_b32_e32 v3, v3, v5
	v_mul_lo_u32 v4, v4, 24
	v_mul_hi_u32 v9, v3, 24
	v_mul_lo_u32 v3, v3, 24
	v_add_nc_u32_e32 v4, v9, v4
	s_waitcnt vmcnt(0)
	v_add_co_u32 v3, vcc_lo, v7, v3
	v_add_co_ci_u32_e64 v4, null, v8, v4, vcc_lo
	global_load_dwordx2 v[3:4], v[3:4], off glc dlc
	s_waitcnt vmcnt(0)
	global_atomic_cmpswap_x2 v[8:9], v2, v[3:6], s[6:7] offset:24 glc
	s_waitcnt vmcnt(0)
	buffer_gl1_inv
	buffer_gl0_inv
	v_cmpx_ne_u64_e64 v[8:9], v[5:6]
	s_cbranch_execz .LBB0_92
; %bb.89:
	s_mov_b32 s9, 0
	.p2align	6
.LBB0_90:                               ; =>This Inner Loop Header: Depth=1
	s_sleep 1
	s_clause 0x1
	global_load_dwordx2 v[3:4], v2, s[6:7] offset:40
	global_load_dwordx2 v[10:11], v2, s[6:7]
	v_mov_b32_e32 v5, v8
	v_mov_b32_e32 v6, v9
	s_waitcnt vmcnt(1)
	v_and_b32_e32 v3, v3, v5
	v_and_b32_e32 v4, v4, v6
	s_waitcnt vmcnt(0)
	v_mad_u64_u32 v[7:8], null, v3, 24, v[10:11]
	v_mov_b32_e32 v3, v8
	v_mad_u64_u32 v[3:4], null, v4, 24, v[3:4]
	v_mov_b32_e32 v8, v3
	global_load_dwordx2 v[3:4], v[7:8], off glc dlc
	s_waitcnt vmcnt(0)
	global_atomic_cmpswap_x2 v[8:9], v2, v[3:6], s[6:7] offset:24 glc
	s_waitcnt vmcnt(0)
	buffer_gl1_inv
	buffer_gl0_inv
	v_cmp_eq_u64_e32 vcc_lo, v[8:9], v[5:6]
	s_or_b32 s9, vcc_lo, s9
	s_andn2_b32 exec_lo, exec_lo, s9
	s_cbranch_execnz .LBB0_90
; %bb.91:
	s_or_b32 exec_lo, exec_lo, s9
.LBB0_92:
	s_or_b32 exec_lo, exec_lo, s8
.LBB0_93:
	s_or_b32 exec_lo, exec_lo, s5
	s_waitcnt vmcnt(0)
	v_mov_b32_e32 v2, 0
	v_readfirstlane_b32 s9, v9
	v_readfirstlane_b32 s8, v8
	s_mov_b32 s5, exec_lo
	s_waitcnt lgkmcnt(0)
	s_clause 0x1
	global_load_dwordx2 v[10:11], v2, s[6:7] offset:40
	global_load_dwordx4 v[4:7], v2, s[6:7]
	s_waitcnt vmcnt(1)
	v_readfirstlane_b32 s10, v10
	v_readfirstlane_b32 s11, v11
	s_and_b64 s[10:11], s[10:11], s[8:9]
	s_mul_i32 s13, s11, 24
	s_mul_hi_u32 s14, s10, 24
	s_mul_i32 s15, s10, 24
	s_add_i32 s14, s14, s13
	s_waitcnt vmcnt(0)
	v_add_co_u32 v8, vcc_lo, v4, s15
	v_add_co_ci_u32_e64 v9, null, s14, v5, vcc_lo
	s_and_saveexec_b32 s13, s4
	s_cbranch_execz .LBB0_95
; %bb.94:
	v_mov_b32_e32 v10, s5
	v_mov_b32_e32 v11, v2
	;; [unrolled: 1-line block ×4, first 2 shown]
	global_store_dwordx4 v[8:9], v[10:13], off offset:8
.LBB0_95:
	s_or_b32 exec_lo, exec_lo, s13
	s_lshl_b64 s[10:11], s[10:11], 12
	s_mov_b32 s16, 0
	v_add_co_u32 v6, vcc_lo, v6, s10
	v_add_co_ci_u32_e64 v7, null, s11, v7, vcc_lo
	s_mov_b32 s17, s16
	s_mov_b32 s18, s16
	;; [unrolled: 1-line block ×3, first 2 shown]
	v_and_or_b32 v0, 0xffffff1f, v0, 32
	v_lshlrev_b32_e32 v14, 6, v33
	v_mov_b32_e32 v3, v2
	v_readfirstlane_b32 s10, v6
	v_readfirstlane_b32 s11, v7
	v_mov_b32_e32 v10, s16
	v_mov_b32_e32 v11, s17
	;; [unrolled: 1-line block ×4, first 2 shown]
	global_store_dwordx4 v14, v[0:3], s[10:11]
	global_store_dwordx4 v14, v[10:13], s[10:11] offset:16
	global_store_dwordx4 v14, v[10:13], s[10:11] offset:32
	;; [unrolled: 1-line block ×3, first 2 shown]
	s_and_saveexec_b32 s5, s4
	s_cbranch_execz .LBB0_103
; %bb.96:
	v_mov_b32_e32 v6, 0
	v_mov_b32_e32 v10, s8
	v_mov_b32_e32 v11, s9
	s_mov_b32 s10, exec_lo
	s_clause 0x1
	global_load_dwordx2 v[12:13], v6, s[6:7] offset:32 glc dlc
	global_load_dwordx2 v[0:1], v6, s[6:7] offset:40
	s_waitcnt vmcnt(0)
	v_and_b32_e32 v1, s9, v1
	v_and_b32_e32 v0, s8, v0
	v_mul_lo_u32 v1, v1, 24
	v_mul_hi_u32 v2, v0, 24
	v_mul_lo_u32 v0, v0, 24
	v_add_nc_u32_e32 v1, v2, v1
	v_add_co_u32 v4, vcc_lo, v4, v0
	v_add_co_ci_u32_e64 v5, null, v5, v1, vcc_lo
	global_store_dwordx2 v[4:5], v[12:13], off
	s_waitcnt_vscnt null, 0x0
	global_atomic_cmpswap_x2 v[2:3], v6, v[10:13], s[6:7] offset:32 glc
	s_waitcnt vmcnt(0)
	v_cmpx_ne_u64_e64 v[2:3], v[12:13]
	s_cbranch_execz .LBB0_99
; %bb.97:
	s_mov_b32 s11, 0
.LBB0_98:                               ; =>This Inner Loop Header: Depth=1
	v_mov_b32_e32 v0, s8
	v_mov_b32_e32 v1, s9
	s_sleep 1
	global_store_dwordx2 v[4:5], v[2:3], off
	s_waitcnt_vscnt null, 0x0
	global_atomic_cmpswap_x2 v[0:1], v6, v[0:3], s[6:7] offset:32 glc
	s_waitcnt vmcnt(0)
	v_cmp_eq_u64_e32 vcc_lo, v[0:1], v[2:3]
	v_mov_b32_e32 v3, v1
	v_mov_b32_e32 v2, v0
	s_or_b32 s11, vcc_lo, s11
	s_andn2_b32 exec_lo, exec_lo, s11
	s_cbranch_execnz .LBB0_98
.LBB0_99:
	s_or_b32 exec_lo, exec_lo, s10
	v_mov_b32_e32 v3, 0
	s_mov_b32 s11, exec_lo
	s_mov_b32 s10, exec_lo
	v_mbcnt_lo_u32_b32 v2, s11, 0
	global_load_dwordx2 v[0:1], v3, s[6:7] offset:16
	v_cmpx_eq_u32_e32 0, v2
	s_cbranch_execz .LBB0_101
; %bb.100:
	s_bcnt1_i32_b32 s11, s11
	v_mov_b32_e32 v2, s11
	s_waitcnt vmcnt(0)
	global_atomic_add_x2 v[0:1], v[2:3], off offset:8
.LBB0_101:
	s_or_b32 exec_lo, exec_lo, s10
	s_waitcnt vmcnt(0)
	global_load_dwordx2 v[2:3], v[0:1], off offset:16
	s_waitcnt vmcnt(0)
	v_cmp_eq_u64_e32 vcc_lo, 0, v[2:3]
	s_cbranch_vccnz .LBB0_103
; %bb.102:
	global_load_dword v0, v[0:1], off offset:24
	v_mov_b32_e32 v1, 0
	s_waitcnt vmcnt(0)
	v_readfirstlane_b32 s10, v0
	s_waitcnt_vscnt null, 0x0
	global_store_dwordx2 v[2:3], v[0:1], off
	s_and_b32 m0, s10, 0x7fffff
	s_sendmsg sendmsg(MSG_INTERRUPT)
.LBB0_103:
	s_or_b32 exec_lo, exec_lo, s5
	s_branch .LBB0_107
	.p2align	6
.LBB0_104:                              ;   in Loop: Header=BB0_107 Depth=1
	s_or_b32 exec_lo, exec_lo, s5
	v_readfirstlane_b32 s5, v0
	s_cmp_eq_u32 s5, 0
	s_cbranch_scc1 .LBB0_106
; %bb.105:                              ;   in Loop: Header=BB0_107 Depth=1
	s_sleep 1
	s_cbranch_execnz .LBB0_107
	s_branch .LBB0_110
	.p2align	6
.LBB0_106:
	s_branch .LBB0_110
.LBB0_107:                              ; =>This Inner Loop Header: Depth=1
	v_mov_b32_e32 v0, 1
	s_and_saveexec_b32 s5, s4
	s_cbranch_execz .LBB0_104
; %bb.108:                              ;   in Loop: Header=BB0_107 Depth=1
	global_load_dword v0, v[8:9], off offset:20 glc dlc
	s_waitcnt vmcnt(0)
	buffer_gl1_inv
	buffer_gl0_inv
	v_and_b32_e32 v0, 1, v0
	s_branch .LBB0_104
.LBB0_109:
	s_or_b32 exec_lo, exec_lo, s12
	s_waitcnt vmcnt(0) lgkmcnt(0)
	s_setpc_b64 s[30:31]
.LBB0_110:
	s_and_saveexec_b32 s10, s4
	s_cbranch_execz .LBB0_114
; %bb.111:
	v_mov_b32_e32 v6, 0
	s_clause 0x2
	global_load_dwordx2 v[0:1], v6, s[6:7] offset:40
	global_load_dwordx2 v[9:10], v6, s[6:7] offset:24 glc dlc
	global_load_dwordx2 v[2:3], v6, s[6:7]
	s_waitcnt vmcnt(2)
	v_readfirstlane_b32 s14, v0
	v_readfirstlane_b32 s15, v1
	s_add_u32 s11, s14, 1
	s_addc_u32 s13, s15, 0
	s_add_u32 s4, s11, s8
	s_addc_u32 s5, s13, s9
	s_cmp_eq_u64 s[4:5], 0
	s_cselect_b32 s5, s13, s5
	s_cselect_b32 s4, s11, s4
	v_mov_b32_e32 v8, s5
	s_and_b64 s[8:9], s[4:5], s[14:15]
	v_mov_b32_e32 v7, s4
	s_mul_i32 s9, s9, 24
	s_mul_hi_u32 s11, s8, 24
	s_mul_i32 s8, s8, 24
	s_add_i32 s11, s11, s9
	s_waitcnt vmcnt(0)
	v_add_co_u32 v4, vcc_lo, v2, s8
	v_add_co_ci_u32_e64 v5, null, s11, v3, vcc_lo
	global_store_dwordx2 v[4:5], v[9:10], off
	s_waitcnt_vscnt null, 0x0
	global_atomic_cmpswap_x2 v[2:3], v6, v[7:10], s[6:7] offset:24 glc
	s_waitcnt vmcnt(0)
	v_cmp_ne_u64_e32 vcc_lo, v[2:3], v[9:10]
	s_and_b32 exec_lo, exec_lo, vcc_lo
	s_cbranch_execz .LBB0_114
; %bb.112:
	s_mov_b32 s8, 0
.LBB0_113:                              ; =>This Inner Loop Header: Depth=1
	v_mov_b32_e32 v0, s4
	v_mov_b32_e32 v1, s5
	s_sleep 1
	global_store_dwordx2 v[4:5], v[2:3], off
	s_waitcnt_vscnt null, 0x0
	global_atomic_cmpswap_x2 v[0:1], v6, v[0:3], s[6:7] offset:24 glc
	s_waitcnt vmcnt(0)
	v_cmp_eq_u64_e32 vcc_lo, v[0:1], v[2:3]
	v_mov_b32_e32 v3, v1
	v_mov_b32_e32 v2, v0
	s_or_b32 s8, vcc_lo, s8
	s_andn2_b32 exec_lo, exec_lo, s8
	s_cbranch_execnz .LBB0_113
.LBB0_114:
	s_or_b32 exec_lo, exec_lo, s10
	s_or_b32 exec_lo, exec_lo, s12
	s_waitcnt lgkmcnt(0)
	s_setpc_b64 s[30:31]
.Lfunc_end0:
	.size	__ockl_fprintf_append_string_n, .Lfunc_end0-__ockl_fprintf_append_string_n
                                        ; -- End function
	.set .L__ockl_fprintf_append_string_n.num_vgpr, 36
	.set .L__ockl_fprintf_append_string_n.num_agpr, 0
	.set .L__ockl_fprintf_append_string_n.numbered_sgpr, 32
	.set .L__ockl_fprintf_append_string_n.num_named_barrier, 0
	.set .L__ockl_fprintf_append_string_n.private_seg_size, 0
	.set .L__ockl_fprintf_append_string_n.uses_vcc, 1
	.set .L__ockl_fprintf_append_string_n.uses_flat_scratch, 0
	.set .L__ockl_fprintf_append_string_n.has_dyn_sized_stack, 0
	.set .L__ockl_fprintf_append_string_n.has_recursion, 0
	.set .L__ockl_fprintf_append_string_n.has_indirect_call, 0
	.section	.AMDGPU.csdata,"",@progbits
; Function info:
; codeLenInByte = 4532
; TotalNumSgprs: 34
; NumVgprs: 36
; ScratchSize: 0
; MemoryBound: 0
	.text
	.p2align	2                               ; -- Begin function __assert_fail
	.type	__assert_fail,@function
__assert_fail:                          ; @__assert_fail
; %bb.0:
	s_waitcnt vmcnt(0) expcnt(0) lgkmcnt(0)
	s_mov_b32 s24, s33
	s_mov_b32 s33, s32
	s_or_saveexec_b32 s4, -1
	buffer_store_dword v40, off, s[0:3], s33 offset:48 ; 4-byte Folded Spill
	s_mov_b32 exec_lo, s4
	v_writelane_b32 v40, s30, 0
	s_addk_i32 s32, 0x800
	v_writelane_b32 v40, s31, 1
	v_mov_b32_e32 v6, v3
	v_mov_b32_e32 v3, 0
	s_getpc_b64 s[4:5]
	s_add_u32 s4, s4, __const.__assert_fail.fmt@rel32@lo+35
	s_addc_u32 s5, s5, __const.__assert_fail.fmt@rel32@hi+43
	v_mbcnt_lo_u32_b32 v36, -1, 0
	v_mov_b32_e32 v9, v1
	v_mov_b32_e32 v8, v0
	global_load_dwordx4 v[10:13], v3, s[4:5]
	s_getpc_b64 s[4:5]
	s_add_u32 s4, s4, __const.__assert_fail.fmt@rel32@lo+4
	s_addc_u32 s5, s5, __const.__assert_fail.fmt@rel32@hi+12
	s_getpc_b64 s[6:7]
	s_add_u32 s6, s6, __const.__assert_fail.fmt@rel32@lo+20
	s_addc_u32 s7, s7, __const.__assert_fail.fmt@rel32@hi+28
	s_clause 0x1
	s_load_dwordx4 s[12:15], s[4:5], 0x0
	s_load_dwordx4 s[16:19], s[6:7], 0x0
	s_load_dwordx2 s[6:7], s[8:9], 0x50
	v_readfirstlane_b32 s4, v36
	v_mov_b32_e32 v0, 0
	v_mov_b32_e32 v7, v4
	;; [unrolled: 1-line block ×3, first 2 shown]
	v_cmp_eq_u32_e64 s4, s4, v36
	s_waitcnt lgkmcnt(0)
	v_mov_b32_e32 v4, s15
	v_mov_b32_e32 v5, s14
	;; [unrolled: 1-line block ×8, first 2 shown]
	buffer_store_dword v4, off, s[0:3], s33 offset:12
	buffer_store_dword v5, off, s[0:3], s33 offset:8
	;; [unrolled: 1-line block ×3, first 2 shown]
	buffer_store_dword v15, off, s[0:3], s33
	buffer_store_dword v16, off, s[0:3], s33 offset:28
	buffer_store_dword v17, off, s[0:3], s33 offset:24
	;; [unrolled: 1-line block ×4, first 2 shown]
	s_waitcnt vmcnt(0)
	buffer_store_dword v13, off, s[0:3], s33 offset:43
	buffer_store_dword v12, off, s[0:3], s33 offset:39
	;; [unrolled: 1-line block ×4, first 2 shown]
	s_and_saveexec_b32 s5, s4
	s_cbranch_execz .LBB1_6
; %bb.1:
	global_load_dwordx2 v[12:13], v3, s[6:7] offset:24 glc dlc
	s_waitcnt vmcnt(0)
	buffer_gl1_inv
	buffer_gl0_inv
	s_clause 0x1
	global_load_dwordx2 v[0:1], v3, s[6:7] offset:40
	global_load_dwordx2 v[4:5], v3, s[6:7]
	s_mov_b32 s10, exec_lo
	s_waitcnt vmcnt(1)
	v_and_b32_e32 v1, v1, v13
	v_and_b32_e32 v0, v0, v12
	v_mul_lo_u32 v1, v1, 24
	v_mul_hi_u32 v10, v0, 24
	v_mul_lo_u32 v0, v0, 24
	v_add_nc_u32_e32 v1, v10, v1
	s_waitcnt vmcnt(0)
	v_add_co_u32 v0, vcc_lo, v4, v0
	v_add_co_ci_u32_e64 v1, null, v5, v1, vcc_lo
	global_load_dwordx2 v[10:11], v[0:1], off glc dlc
	s_waitcnt vmcnt(0)
	global_atomic_cmpswap_x2 v[0:1], v3, v[10:13], s[6:7] offset:24 glc
	s_waitcnt vmcnt(0)
	buffer_gl1_inv
	buffer_gl0_inv
	v_cmpx_ne_u64_e64 v[0:1], v[12:13]
	s_cbranch_execz .LBB1_5
; %bb.2:
	v_mov_b32_e32 v4, 0
	s_mov_b32 s11, 0
	.p2align	6
.LBB1_3:                                ; =>This Inner Loop Header: Depth=1
	s_sleep 1
	s_clause 0x1
	global_load_dwordx2 v[10:11], v4, s[6:7] offset:40
	global_load_dwordx2 v[14:15], v4, s[6:7]
	v_mov_b32_e32 v13, v1
	v_mov_b32_e32 v12, v0
	s_waitcnt vmcnt(1)
	v_and_b32_e32 v0, v10, v12
	v_and_b32_e32 v5, v11, v13
	s_waitcnt vmcnt(0)
	v_mad_u64_u32 v[0:1], null, v0, 24, v[14:15]
	v_mad_u64_u32 v[10:11], null, v5, 24, v[1:2]
	v_mov_b32_e32 v1, v10
	global_load_dwordx2 v[10:11], v[0:1], off glc dlc
	s_waitcnt vmcnt(0)
	global_atomic_cmpswap_x2 v[0:1], v4, v[10:13], s[6:7] offset:24 glc
	s_waitcnt vmcnt(0)
	buffer_gl1_inv
	buffer_gl0_inv
	v_cmp_eq_u64_e32 vcc_lo, v[0:1], v[12:13]
	s_or_b32 s11, vcc_lo, s11
	s_andn2_b32 exec_lo, exec_lo, s11
	s_cbranch_execnz .LBB1_3
; %bb.4:
	s_or_b32 exec_lo, exec_lo, s11
.LBB1_5:
	s_or_b32 exec_lo, exec_lo, s10
.LBB1_6:
	s_or_b32 exec_lo, exec_lo, s5
	s_clause 0x1
	global_load_dwordx2 v[4:5], v3, s[6:7] offset:40
	global_load_dwordx4 v[10:13], v3, s[6:7]
	v_readfirstlane_b32 s11, v1
	v_readfirstlane_b32 s10, v0
	s_mov_b32 s5, exec_lo
	s_waitcnt vmcnt(1)
	v_readfirstlane_b32 s12, v4
	v_readfirstlane_b32 s13, v5
	s_and_b64 s[12:13], s[12:13], s[10:11]
	s_mul_i32 s14, s13, 24
	s_mul_hi_u32 s15, s12, 24
	s_mul_i32 s16, s12, 24
	s_add_i32 s15, s15, s14
	s_waitcnt vmcnt(0)
	v_add_co_u32 v0, vcc_lo, v10, s16
	v_add_co_ci_u32_e64 v1, null, s15, v11, vcc_lo
	s_and_saveexec_b32 s14, s4
	s_cbranch_execz .LBB1_8
; %bb.7:
	v_mov_b32_e32 v14, s5
	v_mov_b32_e32 v15, 0
	;; [unrolled: 1-line block ×4, first 2 shown]
	global_store_dwordx4 v[0:1], v[14:17], off offset:8
.LBB1_8:
	s_or_b32 exec_lo, exec_lo, s14
	s_lshl_b64 s[12:13], s[12:13], 12
	v_lshlrev_b32_e32 v37, 6, v36
	v_add_co_u32 v3, vcc_lo, v12, s12
	v_add_co_ci_u32_e64 v4, null, s13, v13, vcc_lo
	v_mov_b32_e32 v13, 0
	s_mov_b32 s12, 0
	v_readfirstlane_b32 s16, v3
	s_mov_b32 s15, s12
	v_add_co_u32 v3, vcc_lo, v3, v37
	s_mov_b32 s13, s12
	s_mov_b32 s14, s12
	v_mov_b32_e32 v12, 33
	v_mov_b32_e32 v14, 1
	;; [unrolled: 1-line block ×3, first 2 shown]
	v_readfirstlane_b32 s17, v4
	v_mov_b32_e32 v19, s15
	v_add_co_ci_u32_e64 v4, null, 0, v4, vcc_lo
	v_mov_b32_e32 v18, s14
	v_mov_b32_e32 v17, s13
	;; [unrolled: 1-line block ×3, first 2 shown]
	global_store_dwordx4 v37, v[12:15], s[16:17]
	global_store_dwordx4 v37, v[16:19], s[16:17] offset:16
	global_store_dwordx4 v37, v[16:19], s[16:17] offset:32
	;; [unrolled: 1-line block ×3, first 2 shown]
	s_and_saveexec_b32 s5, s4
	s_cbranch_execz .LBB1_16
; %bb.9:
	s_clause 0x1
	global_load_dwordx2 v[18:19], v13, s[6:7] offset:32 glc dlc
	global_load_dwordx2 v[14:15], v13, s[6:7] offset:40
	v_mov_b32_e32 v16, s10
	v_mov_b32_e32 v17, s11
	s_mov_b32 s12, exec_lo
	s_waitcnt vmcnt(0)
	v_and_b32_e32 v5, s11, v15
	v_and_b32_e32 v12, s10, v14
	v_mul_lo_u32 v5, v5, 24
	v_mul_hi_u32 v14, v12, 24
	v_mul_lo_u32 v12, v12, 24
	v_add_nc_u32_e32 v5, v14, v5
	v_add_co_u32 v14, vcc_lo, v10, v12
	v_add_co_ci_u32_e64 v15, null, v11, v5, vcc_lo
	global_store_dwordx2 v[14:15], v[18:19], off
	s_waitcnt_vscnt null, 0x0
	global_atomic_cmpswap_x2 v[12:13], v13, v[16:19], s[6:7] offset:32 glc
	s_waitcnt vmcnt(0)
	v_cmpx_ne_u64_e64 v[12:13], v[18:19]
	s_cbranch_execz .LBB1_12
; %bb.10:
	v_mov_b32_e32 v5, 0
	s_mov_b32 s13, 0
.LBB1_11:                               ; =>This Inner Loop Header: Depth=1
	v_mov_b32_e32 v10, s10
	v_mov_b32_e32 v11, s11
	s_sleep 1
	global_store_dwordx2 v[14:15], v[12:13], off
	s_waitcnt_vscnt null, 0x0
	global_atomic_cmpswap_x2 v[10:11], v5, v[10:13], s[6:7] offset:32 glc
	s_waitcnt vmcnt(0)
	v_cmp_eq_u64_e32 vcc_lo, v[10:11], v[12:13]
	v_mov_b32_e32 v13, v11
	v_mov_b32_e32 v12, v10
	s_or_b32 s13, vcc_lo, s13
	s_andn2_b32 exec_lo, exec_lo, s13
	s_cbranch_execnz .LBB1_11
.LBB1_12:
	s_or_b32 exec_lo, exec_lo, s12
	v_mov_b32_e32 v13, 0
	s_mov_b32 s13, exec_lo
	s_mov_b32 s12, exec_lo
	v_mbcnt_lo_u32_b32 v5, s13, 0
	global_load_dwordx2 v[10:11], v13, s[6:7] offset:16
	v_cmpx_eq_u32_e32 0, v5
	s_cbranch_execz .LBB1_14
; %bb.13:
	s_bcnt1_i32_b32 s13, s13
	v_mov_b32_e32 v12, s13
	s_waitcnt vmcnt(0)
	global_atomic_add_x2 v[10:11], v[12:13], off offset:8
.LBB1_14:
	s_or_b32 exec_lo, exec_lo, s12
	s_waitcnt vmcnt(0)
	global_load_dwordx2 v[12:13], v[10:11], off offset:16
	s_waitcnt vmcnt(0)
	v_cmp_eq_u64_e32 vcc_lo, 0, v[12:13]
	s_cbranch_vccnz .LBB1_16
; %bb.15:
	global_load_dword v10, v[10:11], off offset:24
	v_mov_b32_e32 v11, 0
	s_waitcnt vmcnt(0)
	v_readfirstlane_b32 s12, v10
	s_waitcnt_vscnt null, 0x0
	global_store_dwordx2 v[12:13], v[10:11], off
	s_and_b32 m0, s12, 0x7fffff
	s_sendmsg sendmsg(MSG_INTERRUPT)
.LBB1_16:
	s_or_b32 exec_lo, exec_lo, s5
	s_branch .LBB1_20
	.p2align	6
.LBB1_17:                               ;   in Loop: Header=BB1_20 Depth=1
	s_or_b32 exec_lo, exec_lo, s5
	v_readfirstlane_b32 s5, v5
	s_cmp_eq_u32 s5, 0
	s_cbranch_scc1 .LBB1_19
; %bb.18:                               ;   in Loop: Header=BB1_20 Depth=1
	s_sleep 1
	s_cbranch_execnz .LBB1_20
	s_branch .LBB1_22
	.p2align	6
.LBB1_19:
	s_branch .LBB1_22
.LBB1_20:                               ; =>This Inner Loop Header: Depth=1
	v_mov_b32_e32 v5, 1
	s_and_saveexec_b32 s5, s4
	s_cbranch_execz .LBB1_17
; %bb.21:                               ;   in Loop: Header=BB1_20 Depth=1
	global_load_dword v5, v[0:1], off offset:20 glc dlc
	s_waitcnt vmcnt(0)
	buffer_gl1_inv
	buffer_gl0_inv
	v_and_b32_e32 v5, 1, v5
	s_branch .LBB1_17
.LBB1_22:
	global_load_dwordx2 v[14:15], v[3:4], off
	s_and_saveexec_b32 s12, s4
	s_cbranch_execz .LBB1_26
; %bb.23:
	v_mov_b32_e32 v3, 0
	s_clause 0x2
	global_load_dwordx2 v[0:1], v3, s[6:7] offset:40
	global_load_dwordx2 v[18:19], v3, s[6:7] offset:24 glc dlc
	global_load_dwordx2 v[4:5], v3, s[6:7]
	s_waitcnt vmcnt(2)
	v_readfirstlane_b32 s14, v0
	v_readfirstlane_b32 s15, v1
	s_add_u32 s13, s14, 1
	s_addc_u32 s16, s15, 0
	s_add_u32 s4, s13, s10
	s_addc_u32 s5, s16, s11
	s_cmp_eq_u64 s[4:5], 0
	s_cselect_b32 s5, s16, s5
	s_cselect_b32 s4, s13, s4
	v_mov_b32_e32 v17, s5
	s_and_b64 s[10:11], s[4:5], s[14:15]
	v_mov_b32_e32 v16, s4
	s_mul_i32 s11, s11, 24
	s_mul_hi_u32 s13, s10, 24
	s_mul_i32 s10, s10, 24
	s_add_i32 s13, s13, s11
	s_waitcnt vmcnt(0)
	v_add_co_u32 v0, vcc_lo, v4, s10
	v_add_co_ci_u32_e64 v1, null, s13, v5, vcc_lo
	global_store_dwordx2 v[0:1], v[18:19], off
	s_waitcnt_vscnt null, 0x0
	global_atomic_cmpswap_x2 v[12:13], v3, v[16:19], s[6:7] offset:24 glc
	s_waitcnt vmcnt(0)
	v_cmp_ne_u64_e32 vcc_lo, v[12:13], v[18:19]
	s_and_b32 exec_lo, exec_lo, vcc_lo
	s_cbranch_execz .LBB1_26
; %bb.24:
	s_mov_b32 s10, 0
.LBB1_25:                               ; =>This Inner Loop Header: Depth=1
	v_mov_b32_e32 v10, s4
	v_mov_b32_e32 v11, s5
	s_sleep 1
	global_store_dwordx2 v[0:1], v[12:13], off
	s_waitcnt_vscnt null, 0x0
	global_atomic_cmpswap_x2 v[4:5], v3, v[10:13], s[6:7] offset:24 glc
	s_waitcnt vmcnt(0)
	v_cmp_eq_u64_e32 vcc_lo, v[4:5], v[12:13]
	v_mov_b32_e32 v13, v5
	v_mov_b32_e32 v12, v4
	s_or_b32 s10, vcc_lo, s10
	s_andn2_b32 exec_lo, exec_lo, s10
	s_cbranch_execnz .LBB1_25
.LBB1_26:
	s_or_b32 exec_lo, exec_lo, s12
	s_lshr_b32 s5, s33, 5
	s_mov_b32 s4, 0
.LBB1_27:                               ; =>This Inner Loop Header: Depth=1
	v_mov_b32_e32 v0, s5
	s_add_i32 s5, s5, 1
	buffer_load_ubyte v0, v0, s[0:3], 0 offen
	s_waitcnt vmcnt(0)
	v_cmp_eq_u16_e32 vcc_lo, 0, v0
	v_mov_b32_e32 v0, s5
	s_or_b32 s4, vcc_lo, s4
	s_andn2_b32 exec_lo, exec_lo, s4
	s_cbranch_execnz .LBB1_27
; %bb.28:
	s_or_b32 exec_lo, exec_lo, s4
	s_lshr_b32 s4, s33, 5
	s_cmp_lg_u32 s4, -1
	s_cbranch_scc0 .LBB1_113
; %bb.29:
	v_lshrrev_b32_e64 v1, 5, s33
	v_and_b32_e32 v5, 2, v14
	v_mov_b32_e32 v17, 0
	v_and_b32_e32 v10, -3, v14
	v_mov_b32_e32 v11, v15
	v_subrev_nc_u32_e32 v0, v1, v0
	v_lshrrev_b32_e64 v38, 5, s33
	v_mov_b32_e32 v18, 2
	v_mov_b32_e32 v19, 1
	s_mov_b32 s15, 0
	v_ashrrev_i32_e32 v1, 31, v0
	s_mov_b32 s14, 0
	s_branch .LBB1_31
.LBB1_30:                               ;   in Loop: Header=BB1_31 Depth=1
	s_or_b32 exec_lo, exec_lo, s12
	v_sub_co_u32 v0, vcc_lo, v0, v39
	v_sub_co_ci_u32_e64 v1, null, v1, v34, vcc_lo
	v_add_nc_u32_e32 v38, v38, v39
	v_cmp_eq_u64_e32 vcc_lo, 0, v[0:1]
	s_or_b32 s14, vcc_lo, s14
	s_andn2_b32 exec_lo, exec_lo, s14
	s_cbranch_execz .LBB1_114
.LBB1_31:                               ; =>This Loop Header: Depth=1
                                        ;     Child Loop BB1_34 Depth 2
                                        ;     Child Loop BB1_42 Depth 2
	;; [unrolled: 1-line block ×11, first 2 shown]
	v_cmp_gt_u64_e32 vcc_lo, 56, v[0:1]
	v_add_nc_u32_e32 v4, 8, v38
	s_mov_b32 s5, exec_lo
	v_cndmask_b32_e32 v39, 56, v0, vcc_lo
	v_cmpx_gt_u64_e32 8, v[0:1]
	s_xor_b32 s5, exec_lo, s5
	s_cbranch_execz .LBB1_37
; %bb.32:                               ;   in Loop: Header=BB1_31 Depth=1
	v_mov_b32_e32 v12, 0
	v_mov_b32_e32 v13, 0
	s_mov_b32 s12, exec_lo
	v_cmpx_ne_u64_e32 0, v[0:1]
	s_cbranch_execz .LBB1_36
; %bb.33:                               ;   in Loop: Header=BB1_31 Depth=1
	v_mov_b32_e32 v12, 0
	v_mov_b32_e32 v13, 0
	s_mov_b64 s[10:11], 0
	s_mov_b32 s13, 0
	s_mov_b32 s16, 0
	.p2align	6
.LBB1_34:                               ;   Parent Loop BB1_31 Depth=1
                                        ; =>  This Inner Loop Header: Depth=2
	v_add_nc_u32_e32 v3, s16, v38
	v_mov_b32_e32 v4, s15
	s_add_i32 s16, s16, 1
	v_cmp_eq_u32_e64 s4, s16, v39
	buffer_load_ubyte v3, v3, s[0:3], 0 offen
	s_waitcnt vmcnt(0)
	v_and_b32_e32 v3, 0xffff, v3
	v_lshlrev_b64 v[3:4], s10, v[3:4]
	s_add_u32 s10, s10, 8
	s_addc_u32 s11, s11, 0
	s_or_b32 s13, s4, s13
	v_or_b32_e32 v13, v4, v13
	v_or_b32_e32 v12, v3, v12
	s_andn2_b32 exec_lo, exec_lo, s13
	s_cbranch_execnz .LBB1_34
; %bb.35:                               ;   in Loop: Header=BB1_31 Depth=1
	s_or_b32 exec_lo, exec_lo, s13
.LBB1_36:                               ;   in Loop: Header=BB1_31 Depth=1
	s_or_b32 exec_lo, exec_lo, s12
	v_mov_b32_e32 v4, v38
.LBB1_37:                               ;   in Loop: Header=BB1_31 Depth=1
	s_or_saveexec_b32 s4, s5
	v_mov_b32_e32 v16, 0
	s_xor_b32 exec_lo, exec_lo, s4
	s_cbranch_execz .LBB1_39
; %bb.38:                               ;   in Loop: Header=BB1_31 Depth=1
	s_clause 0x1
	buffer_load_dword v12, v38, s[0:3], 0 offen
	buffer_load_dword v13, v38, s[0:3], 0 offen offset:4
	v_add_nc_u32_e32 v16, -8, v39
.LBB1_39:                               ;   in Loop: Header=BB1_31 Depth=1
	s_or_b32 exec_lo, exec_lo, s4
	v_add_nc_u32_e32 v3, 8, v4
	s_mov_b32 s5, exec_lo
                                        ; implicit-def: $vgpr20_vgpr21
	v_cmpx_gt_u32_e32 8, v16
	s_xor_b32 s5, exec_lo, s5
	s_cbranch_execz .LBB1_45
; %bb.40:                               ;   in Loop: Header=BB1_31 Depth=1
	v_mov_b32_e32 v20, 0
	v_mov_b32_e32 v21, 0
	s_mov_b32 s12, exec_lo
	v_cmpx_ne_u32_e32 0, v16
	s_cbranch_execz .LBB1_44
; %bb.41:                               ;   in Loop: Header=BB1_31 Depth=1
	v_mov_b32_e32 v20, 0
	v_mov_b32_e32 v21, 0
	s_mov_b64 s[10:11], 0
	s_mov_b32 s13, 0
	s_mov_b32 s16, 0
	.p2align	6
.LBB1_42:                               ;   Parent Loop BB1_31 Depth=1
                                        ; =>  This Inner Loop Header: Depth=2
	v_add_nc_u32_e32 v3, s16, v4
	v_mov_b32_e32 v23, s15
	s_add_i32 s16, s16, 1
	v_cmp_eq_u32_e64 s4, s16, v16
	buffer_load_ubyte v3, v3, s[0:3], 0 offen
	s_waitcnt vmcnt(0)
	v_and_b32_e32 v22, 0xffff, v3
	v_lshlrev_b64 v[22:23], s10, v[22:23]
	s_add_u32 s10, s10, 8
	s_addc_u32 s11, s11, 0
	s_or_b32 s13, s4, s13
	v_or_b32_e32 v21, v23, v21
	v_or_b32_e32 v20, v22, v20
	s_andn2_b32 exec_lo, exec_lo, s13
	s_cbranch_execnz .LBB1_42
; %bb.43:                               ;   in Loop: Header=BB1_31 Depth=1
	s_or_b32 exec_lo, exec_lo, s13
.LBB1_44:                               ;   in Loop: Header=BB1_31 Depth=1
	s_or_b32 exec_lo, exec_lo, s12
	v_mov_b32_e32 v3, v4
                                        ; implicit-def: $vgpr16
.LBB1_45:                               ;   in Loop: Header=BB1_31 Depth=1
	s_or_saveexec_b32 s4, s5
	v_mov_b32_e32 v24, 0
	s_xor_b32 exec_lo, exec_lo, s4
	s_cbranch_execz .LBB1_47
; %bb.46:                               ;   in Loop: Header=BB1_31 Depth=1
	s_clause 0x1
	buffer_load_dword v20, v4, s[0:3], 0 offen
	buffer_load_dword v21, v4, s[0:3], 0 offen offset:4
	v_add_nc_u32_e32 v24, -8, v16
.LBB1_47:                               ;   in Loop: Header=BB1_31 Depth=1
	s_or_b32 exec_lo, exec_lo, s4
	v_add_nc_u32_e32 v4, 8, v3
	s_mov_b32 s5, exec_lo
	v_cmpx_gt_u32_e32 8, v24
	s_xor_b32 s5, exec_lo, s5
	s_cbranch_execz .LBB1_53
; %bb.48:                               ;   in Loop: Header=BB1_31 Depth=1
	v_mov_b32_e32 v22, 0
	v_mov_b32_e32 v23, 0
	s_mov_b32 s12, exec_lo
	v_cmpx_ne_u32_e32 0, v24
	s_cbranch_execz .LBB1_52
; %bb.49:                               ;   in Loop: Header=BB1_31 Depth=1
	v_mov_b32_e32 v22, 0
	v_mov_b32_e32 v23, 0
	s_mov_b64 s[10:11], 0
	s_mov_b32 s13, 0
	s_mov_b32 s16, 0
	.p2align	6
.LBB1_50:                               ;   Parent Loop BB1_31 Depth=1
                                        ; =>  This Inner Loop Header: Depth=2
	v_add_nc_u32_e32 v4, s16, v3
	v_mov_b32_e32 v26, s15
	s_add_i32 s16, s16, 1
	v_cmp_eq_u32_e64 s4, s16, v24
	buffer_load_ubyte v4, v4, s[0:3], 0 offen
	s_waitcnt vmcnt(0)
	v_and_b32_e32 v25, 0xffff, v4
	v_lshlrev_b64 v[25:26], s10, v[25:26]
	s_add_u32 s10, s10, 8
	s_addc_u32 s11, s11, 0
	s_or_b32 s13, s4, s13
	v_or_b32_e32 v23, v26, v23
	v_or_b32_e32 v22, v25, v22
	s_andn2_b32 exec_lo, exec_lo, s13
	s_cbranch_execnz .LBB1_50
; %bb.51:                               ;   in Loop: Header=BB1_31 Depth=1
	s_or_b32 exec_lo, exec_lo, s13
.LBB1_52:                               ;   in Loop: Header=BB1_31 Depth=1
	s_or_b32 exec_lo, exec_lo, s12
	v_mov_b32_e32 v4, v3
                                        ; implicit-def: $vgpr24
.LBB1_53:                               ;   in Loop: Header=BB1_31 Depth=1
	s_or_saveexec_b32 s4, s5
	v_mov_b32_e32 v16, 0
	s_xor_b32 exec_lo, exec_lo, s4
	s_cbranch_execz .LBB1_55
; %bb.54:                               ;   in Loop: Header=BB1_31 Depth=1
	s_clause 0x1
	buffer_load_dword v22, v3, s[0:3], 0 offen
	buffer_load_dword v23, v3, s[0:3], 0 offen offset:4
	v_add_nc_u32_e32 v16, -8, v24
.LBB1_55:                               ;   in Loop: Header=BB1_31 Depth=1
	s_or_b32 exec_lo, exec_lo, s4
	v_add_nc_u32_e32 v3, 8, v4
	s_mov_b32 s5, exec_lo
                                        ; implicit-def: $vgpr24_vgpr25
	v_cmpx_gt_u32_e32 8, v16
	s_xor_b32 s5, exec_lo, s5
	s_cbranch_execz .LBB1_61
; %bb.56:                               ;   in Loop: Header=BB1_31 Depth=1
	v_mov_b32_e32 v24, 0
	v_mov_b32_e32 v25, 0
	s_mov_b32 s12, exec_lo
	v_cmpx_ne_u32_e32 0, v16
	s_cbranch_execz .LBB1_60
; %bb.57:                               ;   in Loop: Header=BB1_31 Depth=1
	v_mov_b32_e32 v24, 0
	v_mov_b32_e32 v25, 0
	s_mov_b64 s[10:11], 0
	s_mov_b32 s13, 0
	s_mov_b32 s16, 0
	.p2align	6
.LBB1_58:                               ;   Parent Loop BB1_31 Depth=1
                                        ; =>  This Inner Loop Header: Depth=2
	v_add_nc_u32_e32 v3, s16, v4
	v_mov_b32_e32 v27, s15
	s_add_i32 s16, s16, 1
	v_cmp_eq_u32_e64 s4, s16, v16
	buffer_load_ubyte v3, v3, s[0:3], 0 offen
	s_waitcnt vmcnt(0)
	v_and_b32_e32 v26, 0xffff, v3
	v_lshlrev_b64 v[26:27], s10, v[26:27]
	s_add_u32 s10, s10, 8
	s_addc_u32 s11, s11, 0
	s_or_b32 s13, s4, s13
	v_or_b32_e32 v25, v27, v25
	v_or_b32_e32 v24, v26, v24
	s_andn2_b32 exec_lo, exec_lo, s13
	s_cbranch_execnz .LBB1_58
; %bb.59:                               ;   in Loop: Header=BB1_31 Depth=1
	s_or_b32 exec_lo, exec_lo, s13
.LBB1_60:                               ;   in Loop: Header=BB1_31 Depth=1
	s_or_b32 exec_lo, exec_lo, s12
	v_mov_b32_e32 v3, v4
                                        ; implicit-def: $vgpr16
.LBB1_61:                               ;   in Loop: Header=BB1_31 Depth=1
	s_or_saveexec_b32 s4, s5
	v_mov_b32_e32 v28, 0
	s_xor_b32 exec_lo, exec_lo, s4
	s_cbranch_execz .LBB1_63
; %bb.62:                               ;   in Loop: Header=BB1_31 Depth=1
	s_clause 0x1
	buffer_load_dword v24, v4, s[0:3], 0 offen
	buffer_load_dword v25, v4, s[0:3], 0 offen offset:4
	v_add_nc_u32_e32 v28, -8, v16
.LBB1_63:                               ;   in Loop: Header=BB1_31 Depth=1
	s_or_b32 exec_lo, exec_lo, s4
	v_add_nc_u32_e32 v4, 8, v3
	s_mov_b32 s5, exec_lo
	v_cmpx_gt_u32_e32 8, v28
	s_xor_b32 s5, exec_lo, s5
	s_cbranch_execz .LBB1_69
; %bb.64:                               ;   in Loop: Header=BB1_31 Depth=1
	v_mov_b32_e32 v26, 0
	v_mov_b32_e32 v27, 0
	s_mov_b32 s12, exec_lo
	v_cmpx_ne_u32_e32 0, v28
	s_cbranch_execz .LBB1_68
; %bb.65:                               ;   in Loop: Header=BB1_31 Depth=1
	v_mov_b32_e32 v26, 0
	v_mov_b32_e32 v27, 0
	s_mov_b64 s[10:11], 0
	s_mov_b32 s13, 0
	s_mov_b32 s16, 0
	.p2align	6
.LBB1_66:                               ;   Parent Loop BB1_31 Depth=1
                                        ; =>  This Inner Loop Header: Depth=2
	v_add_nc_u32_e32 v4, s16, v3
	v_mov_b32_e32 v30, s15
	s_add_i32 s16, s16, 1
	v_cmp_eq_u32_e64 s4, s16, v28
	buffer_load_ubyte v4, v4, s[0:3], 0 offen
	s_waitcnt vmcnt(0)
	v_and_b32_e32 v29, 0xffff, v4
	v_lshlrev_b64 v[29:30], s10, v[29:30]
	s_add_u32 s10, s10, 8
	s_addc_u32 s11, s11, 0
	s_or_b32 s13, s4, s13
	v_or_b32_e32 v27, v30, v27
	v_or_b32_e32 v26, v29, v26
	s_andn2_b32 exec_lo, exec_lo, s13
	s_cbranch_execnz .LBB1_66
; %bb.67:                               ;   in Loop: Header=BB1_31 Depth=1
	s_or_b32 exec_lo, exec_lo, s13
.LBB1_68:                               ;   in Loop: Header=BB1_31 Depth=1
	s_or_b32 exec_lo, exec_lo, s12
	v_mov_b32_e32 v4, v3
                                        ; implicit-def: $vgpr28
.LBB1_69:                               ;   in Loop: Header=BB1_31 Depth=1
	s_or_saveexec_b32 s4, s5
	v_mov_b32_e32 v16, 0
	s_xor_b32 exec_lo, exec_lo, s4
	s_cbranch_execz .LBB1_71
; %bb.70:                               ;   in Loop: Header=BB1_31 Depth=1
	s_clause 0x1
	buffer_load_dword v26, v3, s[0:3], 0 offen
	buffer_load_dword v27, v3, s[0:3], 0 offen offset:4
	v_add_nc_u32_e32 v16, -8, v28
.LBB1_71:                               ;   in Loop: Header=BB1_31 Depth=1
	s_or_b32 exec_lo, exec_lo, s4
	v_add_nc_u32_e32 v3, 8, v4
	s_mov_b32 s5, exec_lo
                                        ; implicit-def: $vgpr28_vgpr29
	v_cmpx_gt_u32_e32 8, v16
	s_xor_b32 s5, exec_lo, s5
	s_cbranch_execz .LBB1_77
; %bb.72:                               ;   in Loop: Header=BB1_31 Depth=1
	v_mov_b32_e32 v28, 0
	v_mov_b32_e32 v29, 0
	s_mov_b32 s12, exec_lo
	v_cmpx_ne_u32_e32 0, v16
	s_cbranch_execz .LBB1_76
; %bb.73:                               ;   in Loop: Header=BB1_31 Depth=1
	v_mov_b32_e32 v28, 0
	v_mov_b32_e32 v29, 0
	s_mov_b64 s[10:11], 0
	s_mov_b32 s13, 0
	s_mov_b32 s16, 0
	.p2align	6
.LBB1_74:                               ;   Parent Loop BB1_31 Depth=1
                                        ; =>  This Inner Loop Header: Depth=2
	v_add_nc_u32_e32 v3, s16, v4
	v_mov_b32_e32 v31, s15
	s_add_i32 s16, s16, 1
	v_cmp_eq_u32_e64 s4, s16, v16
	buffer_load_ubyte v3, v3, s[0:3], 0 offen
	s_waitcnt vmcnt(0)
	v_and_b32_e32 v30, 0xffff, v3
	v_lshlrev_b64 v[30:31], s10, v[30:31]
	s_add_u32 s10, s10, 8
	s_addc_u32 s11, s11, 0
	s_or_b32 s13, s4, s13
	v_or_b32_e32 v29, v31, v29
	v_or_b32_e32 v28, v30, v28
	s_andn2_b32 exec_lo, exec_lo, s13
	s_cbranch_execnz .LBB1_74
; %bb.75:                               ;   in Loop: Header=BB1_31 Depth=1
	s_or_b32 exec_lo, exec_lo, s13
.LBB1_76:                               ;   in Loop: Header=BB1_31 Depth=1
	s_or_b32 exec_lo, exec_lo, s12
	v_mov_b32_e32 v3, v4
                                        ; implicit-def: $vgpr16
.LBB1_77:                               ;   in Loop: Header=BB1_31 Depth=1
	s_or_saveexec_b32 s4, s5
	v_mov_b32_e32 v32, 0
	s_xor_b32 exec_lo, exec_lo, s4
	s_cbranch_execz .LBB1_79
; %bb.78:                               ;   in Loop: Header=BB1_31 Depth=1
	s_clause 0x1
	buffer_load_dword v28, v4, s[0:3], 0 offen
	buffer_load_dword v29, v4, s[0:3], 0 offen offset:4
	v_add_nc_u32_e32 v32, -8, v16
.LBB1_79:                               ;   in Loop: Header=BB1_31 Depth=1
	s_or_b32 exec_lo, exec_lo, s4
	s_mov_b32 s5, exec_lo
	v_cmpx_gt_u32_e32 8, v32
	s_xor_b32 s5, exec_lo, s5
	s_cbranch_execz .LBB1_85
; %bb.80:                               ;   in Loop: Header=BB1_31 Depth=1
	v_mov_b32_e32 v30, 0
	v_mov_b32_e32 v31, 0
	s_mov_b32 s12, exec_lo
	v_cmpx_ne_u32_e32 0, v32
	s_cbranch_execz .LBB1_84
; %bb.81:                               ;   in Loop: Header=BB1_31 Depth=1
	v_mov_b32_e32 v30, 0
	v_mov_b32_e32 v31, 0
	s_mov_b64 s[10:11], 0
	s_mov_b32 s13, 0
	.p2align	6
.LBB1_82:                               ;   Parent Loop BB1_31 Depth=1
                                        ; =>  This Inner Loop Header: Depth=2
	buffer_load_ubyte v4, v3, s[0:3], 0 offen
	v_mov_b32_e32 v34, s15
	v_add_nc_u32_e32 v32, -1, v32
	v_add_nc_u32_e32 v3, 1, v3
	v_cmp_eq_u32_e64 s4, 0, v32
	s_waitcnt vmcnt(0)
	v_and_b32_e32 v33, 0xffff, v4
	v_lshlrev_b64 v[33:34], s10, v[33:34]
	s_add_u32 s10, s10, 8
	s_addc_u32 s11, s11, 0
	s_or_b32 s13, s4, s13
	v_or_b32_e32 v31, v34, v31
	v_or_b32_e32 v30, v33, v30
	s_andn2_b32 exec_lo, exec_lo, s13
	s_cbranch_execnz .LBB1_82
; %bb.83:                               ;   in Loop: Header=BB1_31 Depth=1
	s_or_b32 exec_lo, exec_lo, s13
.LBB1_84:                               ;   in Loop: Header=BB1_31 Depth=1
	s_or_b32 exec_lo, exec_lo, s12
                                        ; implicit-def: $vgpr3
.LBB1_85:                               ;   in Loop: Header=BB1_31 Depth=1
	s_andn2_saveexec_b32 s4, s5
	s_cbranch_execz .LBB1_87
; %bb.86:                               ;   in Loop: Header=BB1_31 Depth=1
	s_clause 0x1
	buffer_load_dword v30, v3, s[0:3], 0 offen
	buffer_load_dword v31, v3, s[0:3], 0 offen offset:4
.LBB1_87:                               ;   in Loop: Header=BB1_31 Depth=1
	s_or_b32 exec_lo, exec_lo, s4
	v_readfirstlane_b32 s4, v36
	v_mov_b32_e32 v3, 0
	v_mov_b32_e32 v4, 0
	v_cmp_eq_u32_e64 s4, s4, v36
	s_and_saveexec_b32 s10, s4
	s_cbranch_execz .LBB1_93
; %bb.88:                               ;   in Loop: Header=BB1_31 Depth=1
	global_load_dwordx2 v[34:35], v17, s[6:7] offset:24 glc dlc
	s_waitcnt vmcnt(0)
	buffer_gl1_inv
	buffer_gl0_inv
	s_clause 0x1
	global_load_dwordx2 v[3:4], v17, s[6:7] offset:40
	global_load_dwordx2 v[32:33], v17, s[6:7]
	s_mov_b32 s11, exec_lo
	s_waitcnt vmcnt(1)
	v_and_b32_e32 v4, v4, v35
	v_and_b32_e32 v3, v3, v34
	v_mul_lo_u32 v4, v4, 24
	v_mul_hi_u32 v16, v3, 24
	v_mul_lo_u32 v3, v3, 24
	v_add_nc_u32_e32 v4, v16, v4
	s_waitcnt vmcnt(0)
	v_add_co_u32 v3, s5, v32, v3
	v_add_co_ci_u32_e64 v4, null, v33, v4, s5
	global_load_dwordx2 v[32:33], v[3:4], off glc dlc
	s_waitcnt vmcnt(0)
	global_atomic_cmpswap_x2 v[3:4], v17, v[32:35], s[6:7] offset:24 glc
	s_waitcnt vmcnt(0)
	buffer_gl1_inv
	buffer_gl0_inv
	v_cmpx_ne_u64_e64 v[3:4], v[34:35]
	s_cbranch_execz .LBB1_92
; %bb.89:                               ;   in Loop: Header=BB1_31 Depth=1
	s_mov_b32 s12, 0
	.p2align	6
.LBB1_90:                               ;   Parent Loop BB1_31 Depth=1
                                        ; =>  This Inner Loop Header: Depth=2
	s_sleep 1
	s_clause 0x1
	global_load_dwordx2 v[32:33], v17, s[6:7] offset:40
	global_load_dwordx2 v[48:49], v17, s[6:7]
	v_mov_b32_e32 v35, v4
	v_mov_b32_e32 v34, v3
	s_waitcnt vmcnt(1)
	v_and_b32_e32 v3, v32, v34
	v_and_b32_e32 v16, v33, v35
	s_waitcnt vmcnt(0)
	v_mad_u64_u32 v[3:4], null, v3, 24, v[48:49]
	v_mad_u64_u32 v[32:33], null, v16, 24, v[4:5]
	v_mov_b32_e32 v4, v32
	global_load_dwordx2 v[32:33], v[3:4], off glc dlc
	s_waitcnt vmcnt(0)
	global_atomic_cmpswap_x2 v[3:4], v17, v[32:35], s[6:7] offset:24 glc
	s_waitcnt vmcnt(0)
	buffer_gl1_inv
	buffer_gl0_inv
	v_cmp_eq_u64_e64 s5, v[3:4], v[34:35]
	s_or_b32 s12, s5, s12
	s_andn2_b32 exec_lo, exec_lo, s12
	s_cbranch_execnz .LBB1_90
; %bb.91:                               ;   in Loop: Header=BB1_31 Depth=1
	s_or_b32 exec_lo, exec_lo, s12
.LBB1_92:                               ;   in Loop: Header=BB1_31 Depth=1
	s_or_b32 exec_lo, exec_lo, s11
.LBB1_93:                               ;   in Loop: Header=BB1_31 Depth=1
	s_or_b32 exec_lo, exec_lo, s10
	s_clause 0x1
	global_load_dwordx2 v[48:49], v17, s[6:7] offset:40
	global_load_dwordx4 v[32:35], v17, s[6:7]
	v_readfirstlane_b32 s11, v4
	v_readfirstlane_b32 s10, v3
	s_mov_b32 s16, exec_lo
	s_waitcnt vmcnt(1)
	v_readfirstlane_b32 s12, v48
	v_readfirstlane_b32 s13, v49
	s_and_b64 s[12:13], s[12:13], s[10:11]
	s_mul_i32 s5, s13, 24
	s_mul_hi_u32 s17, s12, 24
	s_mul_i32 s18, s12, 24
	s_add_i32 s17, s17, s5
	s_waitcnt vmcnt(0)
	v_add_co_u32 v3, s5, v32, s18
	v_add_co_ci_u32_e64 v4, null, s17, v33, s5
	s_and_saveexec_b32 s5, s4
	s_cbranch_execz .LBB1_95
; %bb.94:                               ;   in Loop: Header=BB1_31 Depth=1
	v_mov_b32_e32 v16, s16
	global_store_dwordx4 v[3:4], v[16:19], off offset:8
.LBB1_95:                               ;   in Loop: Header=BB1_31 Depth=1
	s_or_b32 exec_lo, exec_lo, s5
	v_cmp_gt_u64_e64 s5, 57, v[0:1]
	v_and_b32_e32 v10, 0xffffff1f, v10
	s_lshl_b64 s[12:13], s[12:13], 12
	v_cndmask_b32_e64 v16, 0, v5, s5
	v_add_co_u32 v48, s5, v34, s12
	v_add_co_ci_u32_e64 v35, null, s13, v35, s5
	v_lshl_add_u32 v34, v39, 2, 28
	v_or_b32_e32 v10, v10, v16
	v_readfirstlane_b32 s12, v48
	v_readfirstlane_b32 s13, v35
	v_and_or_b32 v10, 0x1e0, v34, v10
	v_cndmask_b32_e32 v34, 0, v1, vcc_lo
	global_store_dwordx4 v37, v[20:23], s[12:13] offset:16
	global_store_dwordx4 v37, v[10:13], s[12:13]
	global_store_dwordx4 v37, v[24:27], s[12:13] offset:32
	global_store_dwordx4 v37, v[28:31], s[12:13] offset:48
	s_and_saveexec_b32 s5, s4
	s_cbranch_execz .LBB1_103
; %bb.96:                               ;   in Loop: Header=BB1_31 Depth=1
	s_clause 0x1
	global_load_dwordx2 v[24:25], v17, s[6:7] offset:32 glc dlc
	global_load_dwordx2 v[10:11], v17, s[6:7] offset:40
	v_mov_b32_e32 v22, s10
	v_mov_b32_e32 v23, s11
	s_waitcnt vmcnt(0)
	v_readfirstlane_b32 s12, v10
	v_readfirstlane_b32 s13, v11
	s_and_b64 s[12:13], s[12:13], s[10:11]
	s_mul_i32 s13, s13, 24
	s_mul_hi_u32 s16, s12, 24
	s_mul_i32 s12, s12, 24
	s_add_i32 s16, s16, s13
	v_add_co_u32 v20, vcc_lo, v32, s12
	v_add_co_ci_u32_e64 v21, null, s16, v33, vcc_lo
	s_mov_b32 s12, exec_lo
	global_store_dwordx2 v[20:21], v[24:25], off
	s_waitcnt_vscnt null, 0x0
	global_atomic_cmpswap_x2 v[12:13], v17, v[22:25], s[6:7] offset:32 glc
	s_waitcnt vmcnt(0)
	v_cmpx_ne_u64_e64 v[12:13], v[24:25]
	s_cbranch_execz .LBB1_99
; %bb.97:                               ;   in Loop: Header=BB1_31 Depth=1
	s_mov_b32 s13, 0
.LBB1_98:                               ;   Parent Loop BB1_31 Depth=1
                                        ; =>  This Inner Loop Header: Depth=2
	v_mov_b32_e32 v10, s10
	v_mov_b32_e32 v11, s11
	s_sleep 1
	global_store_dwordx2 v[20:21], v[12:13], off
	s_waitcnt_vscnt null, 0x0
	global_atomic_cmpswap_x2 v[10:11], v17, v[10:13], s[6:7] offset:32 glc
	s_waitcnt vmcnt(0)
	v_cmp_eq_u64_e32 vcc_lo, v[10:11], v[12:13]
	v_mov_b32_e32 v13, v11
	v_mov_b32_e32 v12, v10
	s_or_b32 s13, vcc_lo, s13
	s_andn2_b32 exec_lo, exec_lo, s13
	s_cbranch_execnz .LBB1_98
.LBB1_99:                               ;   in Loop: Header=BB1_31 Depth=1
	s_or_b32 exec_lo, exec_lo, s12
	global_load_dwordx2 v[10:11], v17, s[6:7] offset:16
	s_mov_b32 s13, exec_lo
	s_mov_b32 s12, exec_lo
	v_mbcnt_lo_u32_b32 v12, s13, 0
	v_cmpx_eq_u32_e32 0, v12
	s_cbranch_execz .LBB1_101
; %bb.100:                              ;   in Loop: Header=BB1_31 Depth=1
	s_bcnt1_i32_b32 s13, s13
	v_mov_b32_e32 v16, s13
	s_waitcnt vmcnt(0)
	global_atomic_add_x2 v[10:11], v[16:17], off offset:8
.LBB1_101:                              ;   in Loop: Header=BB1_31 Depth=1
	s_or_b32 exec_lo, exec_lo, s12
	s_waitcnt vmcnt(0)
	global_load_dwordx2 v[12:13], v[10:11], off offset:16
	s_waitcnt vmcnt(0)
	v_cmp_eq_u64_e32 vcc_lo, 0, v[12:13]
	s_cbranch_vccnz .LBB1_103
; %bb.102:                              ;   in Loop: Header=BB1_31 Depth=1
	global_load_dword v16, v[10:11], off offset:24
	s_waitcnt vmcnt(0)
	v_readfirstlane_b32 s12, v16
	s_waitcnt_vscnt null, 0x0
	global_store_dwordx2 v[12:13], v[16:17], off
	s_and_b32 m0, s12, 0x7fffff
	s_sendmsg sendmsg(MSG_INTERRUPT)
.LBB1_103:                              ;   in Loop: Header=BB1_31 Depth=1
	s_or_b32 exec_lo, exec_lo, s5
	v_add_co_u32 v10, vcc_lo, v48, v37
	v_add_co_ci_u32_e64 v11, null, 0, v35, vcc_lo
	s_branch .LBB1_107
	.p2align	6
.LBB1_104:                              ;   in Loop: Header=BB1_107 Depth=2
	s_or_b32 exec_lo, exec_lo, s5
	v_readfirstlane_b32 s5, v12
	s_cmp_eq_u32 s5, 0
	s_cbranch_scc1 .LBB1_106
; %bb.105:                              ;   in Loop: Header=BB1_107 Depth=2
	s_sleep 1
	s_cbranch_execnz .LBB1_107
	s_branch .LBB1_109
	.p2align	6
.LBB1_106:                              ;   in Loop: Header=BB1_31 Depth=1
	s_branch .LBB1_109
.LBB1_107:                              ;   Parent Loop BB1_31 Depth=1
                                        ; =>  This Inner Loop Header: Depth=2
	v_mov_b32_e32 v12, 1
	s_and_saveexec_b32 s5, s4
	s_cbranch_execz .LBB1_104
; %bb.108:                              ;   in Loop: Header=BB1_107 Depth=2
	global_load_dword v12, v[3:4], off offset:20 glc dlc
	s_waitcnt vmcnt(0)
	buffer_gl1_inv
	buffer_gl0_inv
	v_and_b32_e32 v12, 1, v12
	s_branch .LBB1_104
.LBB1_109:                              ;   in Loop: Header=BB1_31 Depth=1
	global_load_dwordx2 v[10:11], v[10:11], off
	s_and_saveexec_b32 s12, s4
	s_cbranch_execz .LBB1_30
; %bb.110:                              ;   in Loop: Header=BB1_31 Depth=1
	s_clause 0x2
	global_load_dwordx2 v[3:4], v17, s[6:7] offset:40
	global_load_dwordx2 v[24:25], v17, s[6:7] offset:24 glc dlc
	global_load_dwordx2 v[12:13], v17, s[6:7]
	s_waitcnt vmcnt(2)
	v_readfirstlane_b32 s16, v3
	v_readfirstlane_b32 s17, v4
	s_add_u32 s13, s16, 1
	s_addc_u32 s18, s17, 0
	s_add_u32 s4, s13, s10
	s_addc_u32 s5, s18, s11
	s_cmp_eq_u64 s[4:5], 0
	s_cselect_b32 s5, s18, s5
	s_cselect_b32 s4, s13, s4
	v_mov_b32_e32 v23, s5
	s_and_b64 s[10:11], s[4:5], s[16:17]
	v_mov_b32_e32 v22, s4
	s_mul_i32 s11, s11, 24
	s_mul_hi_u32 s13, s10, 24
	s_mul_i32 s10, s10, 24
	s_add_i32 s13, s13, s11
	s_waitcnt vmcnt(0)
	v_add_co_u32 v3, vcc_lo, v12, s10
	v_add_co_ci_u32_e64 v4, null, s13, v13, vcc_lo
	global_store_dwordx2 v[3:4], v[24:25], off
	s_waitcnt_vscnt null, 0x0
	global_atomic_cmpswap_x2 v[22:23], v17, v[22:25], s[6:7] offset:24 glc
	s_waitcnt vmcnt(0)
	v_cmp_ne_u64_e32 vcc_lo, v[22:23], v[24:25]
	s_and_b32 exec_lo, exec_lo, vcc_lo
	s_cbranch_execz .LBB1_30
; %bb.111:                              ;   in Loop: Header=BB1_31 Depth=1
	s_mov_b32 s10, 0
.LBB1_112:                              ;   Parent Loop BB1_31 Depth=1
                                        ; =>  This Inner Loop Header: Depth=2
	v_mov_b32_e32 v20, s4
	v_mov_b32_e32 v21, s5
	s_sleep 1
	global_store_dwordx2 v[3:4], v[22:23], off
	s_waitcnt_vscnt null, 0x0
	global_atomic_cmpswap_x2 v[12:13], v17, v[20:23], s[6:7] offset:24 glc
	s_waitcnt vmcnt(0)
	v_cmp_eq_u64_e32 vcc_lo, v[12:13], v[22:23]
	v_mov_b32_e32 v23, v13
	v_mov_b32_e32 v22, v12
	s_or_b32 s10, vcc_lo, s10
	s_andn2_b32 exec_lo, exec_lo, s10
	s_cbranch_execnz .LBB1_112
	s_branch .LBB1_30
.LBB1_113:
                                        ; implicit-def: $vgpr10_vgpr11
	s_cbranch_execnz .LBB1_115
	s_branch .LBB1_142
.LBB1_114:
	s_or_b32 exec_lo, exec_lo, s14
	s_branch .LBB1_142
.LBB1_115:
	v_readfirstlane_b32 s4, v36
	v_mov_b32_e32 v0, 0
	v_mov_b32_e32 v1, 0
	v_cmp_eq_u32_e64 s4, s4, v36
	s_and_saveexec_b32 s5, s4
	s_cbranch_execz .LBB1_121
; %bb.116:
	v_mov_b32_e32 v3, 0
	s_mov_b32 s10, exec_lo
	global_load_dwordx2 v[12:13], v3, s[6:7] offset:24 glc dlc
	s_waitcnt vmcnt(0)
	buffer_gl1_inv
	buffer_gl0_inv
	s_clause 0x1
	global_load_dwordx2 v[0:1], v3, s[6:7] offset:40
	global_load_dwordx2 v[4:5], v3, s[6:7]
	s_waitcnt vmcnt(1)
	v_and_b32_e32 v1, v1, v13
	v_and_b32_e32 v0, v0, v12
	v_mul_lo_u32 v1, v1, 24
	v_mul_hi_u32 v10, v0, 24
	v_mul_lo_u32 v0, v0, 24
	v_add_nc_u32_e32 v1, v10, v1
	s_waitcnt vmcnt(0)
	v_add_co_u32 v0, vcc_lo, v4, v0
	v_add_co_ci_u32_e64 v1, null, v5, v1, vcc_lo
	global_load_dwordx2 v[10:11], v[0:1], off glc dlc
	s_waitcnt vmcnt(0)
	global_atomic_cmpswap_x2 v[0:1], v3, v[10:13], s[6:7] offset:24 glc
	s_waitcnt vmcnt(0)
	buffer_gl1_inv
	buffer_gl0_inv
	v_cmpx_ne_u64_e64 v[0:1], v[12:13]
	s_cbranch_execz .LBB1_120
; %bb.117:
	s_mov_b32 s11, 0
	.p2align	6
.LBB1_118:                              ; =>This Inner Loop Header: Depth=1
	s_sleep 1
	s_clause 0x1
	global_load_dwordx2 v[4:5], v3, s[6:7] offset:40
	global_load_dwordx2 v[10:11], v3, s[6:7]
	v_mov_b32_e32 v13, v1
	v_mov_b32_e32 v12, v0
	s_waitcnt vmcnt(1)
	v_and_b32_e32 v0, v4, v12
	v_and_b32_e32 v4, v5, v13
	s_waitcnt vmcnt(0)
	v_mad_u64_u32 v[0:1], null, v0, 24, v[10:11]
	v_mad_u64_u32 v[4:5], null, v4, 24, v[1:2]
	v_mov_b32_e32 v1, v4
	global_load_dwordx2 v[10:11], v[0:1], off glc dlc
	s_waitcnt vmcnt(0)
	global_atomic_cmpswap_x2 v[0:1], v3, v[10:13], s[6:7] offset:24 glc
	s_waitcnt vmcnt(0)
	buffer_gl1_inv
	buffer_gl0_inv
	v_cmp_eq_u64_e32 vcc_lo, v[0:1], v[12:13]
	s_or_b32 s11, vcc_lo, s11
	s_andn2_b32 exec_lo, exec_lo, s11
	s_cbranch_execnz .LBB1_118
; %bb.119:
	s_or_b32 exec_lo, exec_lo, s11
.LBB1_120:
	s_or_b32 exec_lo, exec_lo, s10
.LBB1_121:
	s_or_b32 exec_lo, exec_lo, s5
	v_mov_b32_e32 v16, 0
	v_readfirstlane_b32 s11, v1
	v_readfirstlane_b32 s10, v0
	s_mov_b32 s5, exec_lo
	s_clause 0x1
	global_load_dwordx2 v[3:4], v16, s[6:7] offset:40
	global_load_dwordx4 v[10:13], v16, s[6:7]
	s_waitcnt vmcnt(1)
	v_readfirstlane_b32 s12, v3
	v_readfirstlane_b32 s13, v4
	s_and_b64 s[12:13], s[12:13], s[10:11]
	s_mul_i32 s14, s13, 24
	s_mul_hi_u32 s15, s12, 24
	s_mul_i32 s16, s12, 24
	s_add_i32 s15, s15, s14
	s_waitcnt vmcnt(0)
	v_add_co_u32 v0, vcc_lo, v10, s16
	v_add_co_ci_u32_e64 v1, null, s15, v11, vcc_lo
	s_and_saveexec_b32 s14, s4
	s_cbranch_execz .LBB1_123
; %bb.122:
	v_mov_b32_e32 v17, s5
	v_mov_b32_e32 v18, v16
	;; [unrolled: 1-line block ×4, first 2 shown]
	global_store_dwordx4 v[0:1], v[17:20], off offset:8
.LBB1_123:
	s_or_b32 exec_lo, exec_lo, s14
	s_lshl_b64 s[12:13], s[12:13], 12
	v_and_or_b32 v14, 0xffffff1f, v14, 32
	v_add_co_u32 v3, vcc_lo, v12, s12
	v_add_co_ci_u32_e64 v4, null, s13, v13, vcc_lo
	s_mov_b32 s12, 0
	v_readfirstlane_b32 s16, v3
	s_mov_b32 s15, s12
	v_add_co_u32 v3, vcc_lo, v3, v37
	s_mov_b32 s13, s12
	s_mov_b32 s14, s12
	v_mov_b32_e32 v17, v16
	v_readfirstlane_b32 s17, v4
	v_mov_b32_e32 v21, s15
	v_add_co_ci_u32_e64 v4, null, 0, v4, vcc_lo
	v_mov_b32_e32 v20, s14
	v_mov_b32_e32 v19, s13
	;; [unrolled: 1-line block ×3, first 2 shown]
	global_store_dwordx4 v37, v[14:17], s[16:17]
	global_store_dwordx4 v37, v[18:21], s[16:17] offset:16
	global_store_dwordx4 v37, v[18:21], s[16:17] offset:32
	;; [unrolled: 1-line block ×3, first 2 shown]
	s_and_saveexec_b32 s5, s4
	s_cbranch_execz .LBB1_131
; %bb.124:
	v_mov_b32_e32 v5, 0
	v_mov_b32_e32 v16, s10
	;; [unrolled: 1-line block ×3, first 2 shown]
	s_clause 0x1
	global_load_dwordx2 v[18:19], v5, s[6:7] offset:32 glc dlc
	global_load_dwordx2 v[12:13], v5, s[6:7] offset:40
	s_waitcnt vmcnt(0)
	v_readfirstlane_b32 s12, v12
	v_readfirstlane_b32 s13, v13
	s_and_b64 s[12:13], s[12:13], s[10:11]
	s_mul_i32 s13, s13, 24
	s_mul_hi_u32 s14, s12, 24
	s_mul_i32 s12, s12, 24
	s_add_i32 s14, s14, s13
	v_add_co_u32 v14, vcc_lo, v10, s12
	v_add_co_ci_u32_e64 v15, null, s14, v11, vcc_lo
	s_mov_b32 s12, exec_lo
	global_store_dwordx2 v[14:15], v[18:19], off
	s_waitcnt_vscnt null, 0x0
	global_atomic_cmpswap_x2 v[12:13], v5, v[16:19], s[6:7] offset:32 glc
	s_waitcnt vmcnt(0)
	v_cmpx_ne_u64_e64 v[12:13], v[18:19]
	s_cbranch_execz .LBB1_127
; %bb.125:
	s_mov_b32 s13, 0
.LBB1_126:                              ; =>This Inner Loop Header: Depth=1
	v_mov_b32_e32 v10, s10
	v_mov_b32_e32 v11, s11
	s_sleep 1
	global_store_dwordx2 v[14:15], v[12:13], off
	s_waitcnt_vscnt null, 0x0
	global_atomic_cmpswap_x2 v[10:11], v5, v[10:13], s[6:7] offset:32 glc
	s_waitcnt vmcnt(0)
	v_cmp_eq_u64_e32 vcc_lo, v[10:11], v[12:13]
	v_mov_b32_e32 v13, v11
	v_mov_b32_e32 v12, v10
	s_or_b32 s13, vcc_lo, s13
	s_andn2_b32 exec_lo, exec_lo, s13
	s_cbranch_execnz .LBB1_126
.LBB1_127:
	s_or_b32 exec_lo, exec_lo, s12
	v_mov_b32_e32 v13, 0
	s_mov_b32 s13, exec_lo
	s_mov_b32 s12, exec_lo
	v_mbcnt_lo_u32_b32 v5, s13, 0
	global_load_dwordx2 v[10:11], v13, s[6:7] offset:16
	v_cmpx_eq_u32_e32 0, v5
	s_cbranch_execz .LBB1_129
; %bb.128:
	s_bcnt1_i32_b32 s13, s13
	v_mov_b32_e32 v12, s13
	s_waitcnt vmcnt(0)
	global_atomic_add_x2 v[10:11], v[12:13], off offset:8
.LBB1_129:
	s_or_b32 exec_lo, exec_lo, s12
	s_waitcnt vmcnt(0)
	global_load_dwordx2 v[12:13], v[10:11], off offset:16
	s_waitcnt vmcnt(0)
	v_cmp_eq_u64_e32 vcc_lo, 0, v[12:13]
	s_cbranch_vccnz .LBB1_131
; %bb.130:
	global_load_dword v10, v[10:11], off offset:24
	v_mov_b32_e32 v11, 0
	s_waitcnt vmcnt(0)
	v_readfirstlane_b32 s12, v10
	s_waitcnt_vscnt null, 0x0
	global_store_dwordx2 v[12:13], v[10:11], off
	s_and_b32 m0, s12, 0x7fffff
	s_sendmsg sendmsg(MSG_INTERRUPT)
.LBB1_131:
	s_or_b32 exec_lo, exec_lo, s5
	s_branch .LBB1_135
	.p2align	6
.LBB1_132:                              ;   in Loop: Header=BB1_135 Depth=1
	s_or_b32 exec_lo, exec_lo, s5
	v_readfirstlane_b32 s5, v5
	s_cmp_eq_u32 s5, 0
	s_cbranch_scc1 .LBB1_134
; %bb.133:                              ;   in Loop: Header=BB1_135 Depth=1
	s_sleep 1
	s_cbranch_execnz .LBB1_135
	s_branch .LBB1_137
	.p2align	6
.LBB1_134:
	s_branch .LBB1_137
.LBB1_135:                              ; =>This Inner Loop Header: Depth=1
	v_mov_b32_e32 v5, 1
	s_and_saveexec_b32 s5, s4
	s_cbranch_execz .LBB1_132
; %bb.136:                              ;   in Loop: Header=BB1_135 Depth=1
	global_load_dword v5, v[0:1], off offset:20 glc dlc
	s_waitcnt vmcnt(0)
	buffer_gl1_inv
	buffer_gl0_inv
	v_and_b32_e32 v5, 1, v5
	s_branch .LBB1_132
.LBB1_137:
	global_load_dwordx2 v[10:11], v[3:4], off
	s_and_saveexec_b32 s12, s4
	s_cbranch_execz .LBB1_141
; %bb.138:
	v_mov_b32_e32 v3, 0
	s_clause 0x2
	global_load_dwordx2 v[0:1], v3, s[6:7] offset:40
	global_load_dwordx2 v[16:17], v3, s[6:7] offset:24 glc dlc
	global_load_dwordx2 v[4:5], v3, s[6:7]
	s_waitcnt vmcnt(2)
	v_readfirstlane_b32 s14, v0
	v_readfirstlane_b32 s15, v1
	s_add_u32 s13, s14, 1
	s_addc_u32 s16, s15, 0
	s_add_u32 s4, s13, s10
	s_addc_u32 s5, s16, s11
	s_cmp_eq_u64 s[4:5], 0
	s_cselect_b32 s5, s16, s5
	s_cselect_b32 s4, s13, s4
	v_mov_b32_e32 v15, s5
	s_and_b64 s[10:11], s[4:5], s[14:15]
	v_mov_b32_e32 v14, s4
	s_mul_i32 s11, s11, 24
	s_mul_hi_u32 s13, s10, 24
	s_mul_i32 s10, s10, 24
	s_add_i32 s13, s13, s11
	s_waitcnt vmcnt(0)
	v_add_co_u32 v0, vcc_lo, v4, s10
	v_add_co_ci_u32_e64 v1, null, s13, v5, vcc_lo
	global_store_dwordx2 v[0:1], v[16:17], off
	s_waitcnt_vscnt null, 0x0
	global_atomic_cmpswap_x2 v[14:15], v3, v[14:17], s[6:7] offset:24 glc
	s_waitcnt vmcnt(0)
	v_cmp_ne_u64_e32 vcc_lo, v[14:15], v[16:17]
	s_and_b32 exec_lo, exec_lo, vcc_lo
	s_cbranch_execz .LBB1_141
; %bb.139:
	s_mov_b32 s10, 0
.LBB1_140:                              ; =>This Inner Loop Header: Depth=1
	v_mov_b32_e32 v12, s4
	v_mov_b32_e32 v13, s5
	s_sleep 1
	global_store_dwordx2 v[0:1], v[14:15], off
	s_waitcnt_vscnt null, 0x0
	global_atomic_cmpswap_x2 v[4:5], v3, v[12:15], s[6:7] offset:24 glc
	s_waitcnt vmcnt(0)
	v_cmp_eq_u64_e32 vcc_lo, v[4:5], v[14:15]
	v_mov_b32_e32 v15, v5
	v_mov_b32_e32 v14, v4
	s_or_b32 s10, vcc_lo, s10
	s_andn2_b32 exec_lo, exec_lo, s10
	s_cbranch_execnz .LBB1_140
.LBB1_141:
	s_or_b32 exec_lo, exec_lo, s12
.LBB1_142:
	s_getpc_b64 s[10:11]
	s_add_u32 s10, s10, .str.1@rel32@lo+4
	s_addc_u32 s11, s11, .str.1@rel32@hi+12
	s_cmp_lg_u64 s[10:11], 0
	s_cbranch_scc0 .LBB1_220
; %bb.143:
	s_getpc_b64 s[4:5]
	s_add_u32 s4, s4, .str.1@rel32@lo+83
	s_addc_u32 s5, s5, .str.1@rel32@hi+91
	s_waitcnt vmcnt(0)
	v_and_b32_e32 v5, 2, v10
	v_mov_b32_e32 v17, 0
	v_and_b32_e32 v12, -3, v10
	v_mov_b32_e32 v13, v11
	v_mov_b32_e32 v18, 2
	;; [unrolled: 1-line block ×3, first 2 shown]
	s_sub_i32 s12, s4, s10
	s_ashr_i32 s13, s12, 31
	s_branch .LBB1_145
.LBB1_144:                              ;   in Loop: Header=BB1_145 Depth=1
	s_or_b32 exec_lo, exec_lo, s18
	s_sub_u32 s12, s12, s14
	s_subb_u32 s13, s13, s15
	s_add_u32 s10, s10, s14
	s_addc_u32 s11, s11, s15
	s_cmp_lg_u64 s[12:13], 0
	s_cbranch_scc0 .LBB1_221
.LBB1_145:                              ; =>This Loop Header: Depth=1
                                        ;     Child Loop BB1_148 Depth 2
                                        ;     Child Loop BB1_155 Depth 2
	;; [unrolled: 1-line block ×11, first 2 shown]
	v_cmp_lt_u64_e64 s4, s[12:13], 56
	v_cmp_gt_u64_e64 s16, s[12:13], 7
	s_and_b32 s4, s4, exec_lo
	s_cselect_b32 s15, s13, 0
	s_cselect_b32 s14, s12, 56
	s_add_u32 s4, s10, 8
	s_addc_u32 s5, s11, 0
	s_and_b32 vcc_lo, exec_lo, s16
	s_cbranch_vccnz .LBB1_150
; %bb.146:                              ;   in Loop: Header=BB1_145 Depth=1
	v_mov_b32_e32 v14, 0
	v_mov_b32_e32 v15, 0
	s_cmp_eq_u64 s[12:13], 0
	s_cbranch_scc1 .LBB1_149
; %bb.147:                              ;   in Loop: Header=BB1_145 Depth=1
	s_lshl_b64 s[4:5], s[14:15], 3
	s_mov_b64 s[16:17], 0
	s_mov_b64 s[18:19], s[10:11]
.LBB1_148:                              ;   Parent Loop BB1_145 Depth=1
                                        ; =>  This Inner Loop Header: Depth=2
	global_load_ubyte v0, v17, s[18:19]
	s_waitcnt vmcnt(0)
	v_and_b32_e32 v16, 0xffff, v0
	v_lshlrev_b64 v[0:1], s16, v[16:17]
	s_add_u32 s16, s16, 8
	s_addc_u32 s17, s17, 0
	s_add_u32 s18, s18, 1
	s_addc_u32 s19, s19, 0
	s_cmp_lg_u32 s4, s16
	v_or_b32_e32 v14, v0, v14
	v_or_b32_e32 v15, v1, v15
	s_cbranch_scc1 .LBB1_148
.LBB1_149:                              ;   in Loop: Header=BB1_145 Depth=1
	s_mov_b64 s[4:5], s[10:11]
	s_mov_b32 s20, 0
	s_cbranch_execz .LBB1_151
	s_branch .LBB1_152
.LBB1_150:                              ;   in Loop: Header=BB1_145 Depth=1
	s_mov_b32 s20, 0
.LBB1_151:                              ;   in Loop: Header=BB1_145 Depth=1
	global_load_dwordx2 v[14:15], v17, s[10:11]
	s_add_i32 s20, s14, -8
.LBB1_152:                              ;   in Loop: Header=BB1_145 Depth=1
	s_add_u32 s16, s4, 8
	s_addc_u32 s17, s5, 0
	s_cmp_gt_u32 s20, 7
	s_cbranch_scc1 .LBB1_157
; %bb.153:                              ;   in Loop: Header=BB1_145 Depth=1
	v_mov_b32_e32 v20, 0
	v_mov_b32_e32 v21, 0
	s_cmp_eq_u32 s20, 0
	s_cbranch_scc1 .LBB1_156
; %bb.154:                              ;   in Loop: Header=BB1_145 Depth=1
	s_mov_b64 s[16:17], 0
	s_mov_b64 s[18:19], 0
.LBB1_155:                              ;   Parent Loop BB1_145 Depth=1
                                        ; =>  This Inner Loop Header: Depth=2
	s_add_u32 s22, s4, s18
	s_addc_u32 s23, s5, s19
	s_add_u32 s18, s18, 1
	global_load_ubyte v0, v17, s[22:23]
	s_addc_u32 s19, s19, 0
	s_waitcnt vmcnt(0)
	v_and_b32_e32 v16, 0xffff, v0
	v_lshlrev_b64 v[0:1], s16, v[16:17]
	s_add_u32 s16, s16, 8
	s_addc_u32 s17, s17, 0
	s_cmp_lg_u32 s20, s18
	v_or_b32_e32 v20, v0, v20
	v_or_b32_e32 v21, v1, v21
	s_cbranch_scc1 .LBB1_155
.LBB1_156:                              ;   in Loop: Header=BB1_145 Depth=1
	s_mov_b64 s[16:17], s[4:5]
	s_mov_b32 s21, 0
	s_cbranch_execz .LBB1_158
	s_branch .LBB1_159
.LBB1_157:                              ;   in Loop: Header=BB1_145 Depth=1
                                        ; implicit-def: $vgpr20_vgpr21
	s_mov_b32 s21, 0
.LBB1_158:                              ;   in Loop: Header=BB1_145 Depth=1
	global_load_dwordx2 v[20:21], v17, s[4:5]
	s_add_i32 s21, s20, -8
.LBB1_159:                              ;   in Loop: Header=BB1_145 Depth=1
	s_add_u32 s4, s16, 8
	s_addc_u32 s5, s17, 0
	s_cmp_gt_u32 s21, 7
	s_cbranch_scc1 .LBB1_164
; %bb.160:                              ;   in Loop: Header=BB1_145 Depth=1
	v_mov_b32_e32 v22, 0
	v_mov_b32_e32 v23, 0
	s_cmp_eq_u32 s21, 0
	s_cbranch_scc1 .LBB1_163
; %bb.161:                              ;   in Loop: Header=BB1_145 Depth=1
	s_mov_b64 s[4:5], 0
	s_mov_b64 s[18:19], 0
.LBB1_162:                              ;   Parent Loop BB1_145 Depth=1
                                        ; =>  This Inner Loop Header: Depth=2
	s_add_u32 s22, s16, s18
	s_addc_u32 s23, s17, s19
	s_add_u32 s18, s18, 1
	global_load_ubyte v0, v17, s[22:23]
	s_addc_u32 s19, s19, 0
	s_waitcnt vmcnt(0)
	v_and_b32_e32 v16, 0xffff, v0
	v_lshlrev_b64 v[0:1], s4, v[16:17]
	s_add_u32 s4, s4, 8
	s_addc_u32 s5, s5, 0
	s_cmp_lg_u32 s21, s18
	v_or_b32_e32 v22, v0, v22
	v_or_b32_e32 v23, v1, v23
	s_cbranch_scc1 .LBB1_162
.LBB1_163:                              ;   in Loop: Header=BB1_145 Depth=1
	s_mov_b64 s[4:5], s[16:17]
	s_mov_b32 s20, 0
	s_cbranch_execz .LBB1_165
	s_branch .LBB1_166
.LBB1_164:                              ;   in Loop: Header=BB1_145 Depth=1
	s_mov_b32 s20, 0
.LBB1_165:                              ;   in Loop: Header=BB1_145 Depth=1
	global_load_dwordx2 v[22:23], v17, s[16:17]
	s_add_i32 s20, s21, -8
.LBB1_166:                              ;   in Loop: Header=BB1_145 Depth=1
	s_add_u32 s16, s4, 8
	s_addc_u32 s17, s5, 0
	s_cmp_gt_u32 s20, 7
	s_cbranch_scc1 .LBB1_171
; %bb.167:                              ;   in Loop: Header=BB1_145 Depth=1
	v_mov_b32_e32 v24, 0
	v_mov_b32_e32 v25, 0
	s_cmp_eq_u32 s20, 0
	s_cbranch_scc1 .LBB1_170
; %bb.168:                              ;   in Loop: Header=BB1_145 Depth=1
	s_mov_b64 s[16:17], 0
	s_mov_b64 s[18:19], 0
.LBB1_169:                              ;   Parent Loop BB1_145 Depth=1
                                        ; =>  This Inner Loop Header: Depth=2
	s_add_u32 s22, s4, s18
	s_addc_u32 s23, s5, s19
	s_add_u32 s18, s18, 1
	global_load_ubyte v0, v17, s[22:23]
	s_addc_u32 s19, s19, 0
	s_waitcnt vmcnt(0)
	v_and_b32_e32 v16, 0xffff, v0
	v_lshlrev_b64 v[0:1], s16, v[16:17]
	s_add_u32 s16, s16, 8
	s_addc_u32 s17, s17, 0
	s_cmp_lg_u32 s20, s18
	v_or_b32_e32 v24, v0, v24
	v_or_b32_e32 v25, v1, v25
	s_cbranch_scc1 .LBB1_169
.LBB1_170:                              ;   in Loop: Header=BB1_145 Depth=1
	s_mov_b64 s[16:17], s[4:5]
	s_mov_b32 s21, 0
	s_cbranch_execz .LBB1_172
	s_branch .LBB1_173
.LBB1_171:                              ;   in Loop: Header=BB1_145 Depth=1
                                        ; implicit-def: $vgpr24_vgpr25
	s_mov_b32 s21, 0
.LBB1_172:                              ;   in Loop: Header=BB1_145 Depth=1
	global_load_dwordx2 v[24:25], v17, s[4:5]
	s_add_i32 s21, s20, -8
.LBB1_173:                              ;   in Loop: Header=BB1_145 Depth=1
	s_add_u32 s4, s16, 8
	s_addc_u32 s5, s17, 0
	s_cmp_gt_u32 s21, 7
	s_cbranch_scc1 .LBB1_178
; %bb.174:                              ;   in Loop: Header=BB1_145 Depth=1
	v_mov_b32_e32 v26, 0
	v_mov_b32_e32 v27, 0
	s_cmp_eq_u32 s21, 0
	s_cbranch_scc1 .LBB1_177
; %bb.175:                              ;   in Loop: Header=BB1_145 Depth=1
	s_mov_b64 s[4:5], 0
	s_mov_b64 s[18:19], 0
.LBB1_176:                              ;   Parent Loop BB1_145 Depth=1
                                        ; =>  This Inner Loop Header: Depth=2
	s_add_u32 s22, s16, s18
	s_addc_u32 s23, s17, s19
	s_add_u32 s18, s18, 1
	global_load_ubyte v0, v17, s[22:23]
	s_addc_u32 s19, s19, 0
	s_waitcnt vmcnt(0)
	v_and_b32_e32 v16, 0xffff, v0
	v_lshlrev_b64 v[0:1], s4, v[16:17]
	s_add_u32 s4, s4, 8
	s_addc_u32 s5, s5, 0
	s_cmp_lg_u32 s21, s18
	v_or_b32_e32 v26, v0, v26
	v_or_b32_e32 v27, v1, v27
	s_cbranch_scc1 .LBB1_176
.LBB1_177:                              ;   in Loop: Header=BB1_145 Depth=1
	s_mov_b64 s[4:5], s[16:17]
	s_mov_b32 s20, 0
	s_cbranch_execz .LBB1_179
	s_branch .LBB1_180
.LBB1_178:                              ;   in Loop: Header=BB1_145 Depth=1
	s_mov_b32 s20, 0
.LBB1_179:                              ;   in Loop: Header=BB1_145 Depth=1
	global_load_dwordx2 v[26:27], v17, s[16:17]
	s_add_i32 s20, s21, -8
.LBB1_180:                              ;   in Loop: Header=BB1_145 Depth=1
	s_add_u32 s16, s4, 8
	s_addc_u32 s17, s5, 0
	s_cmp_gt_u32 s20, 7
	s_cbranch_scc1 .LBB1_185
; %bb.181:                              ;   in Loop: Header=BB1_145 Depth=1
	v_mov_b32_e32 v28, 0
	v_mov_b32_e32 v29, 0
	s_cmp_eq_u32 s20, 0
	s_cbranch_scc1 .LBB1_184
; %bb.182:                              ;   in Loop: Header=BB1_145 Depth=1
	s_mov_b64 s[16:17], 0
	s_mov_b64 s[18:19], 0
.LBB1_183:                              ;   Parent Loop BB1_145 Depth=1
                                        ; =>  This Inner Loop Header: Depth=2
	s_add_u32 s22, s4, s18
	s_addc_u32 s23, s5, s19
	s_add_u32 s18, s18, 1
	global_load_ubyte v0, v17, s[22:23]
	s_addc_u32 s19, s19, 0
	s_waitcnt vmcnt(0)
	v_and_b32_e32 v16, 0xffff, v0
	v_lshlrev_b64 v[0:1], s16, v[16:17]
	s_add_u32 s16, s16, 8
	s_addc_u32 s17, s17, 0
	s_cmp_lg_u32 s20, s18
	v_or_b32_e32 v28, v0, v28
	v_or_b32_e32 v29, v1, v29
	s_cbranch_scc1 .LBB1_183
.LBB1_184:                              ;   in Loop: Header=BB1_145 Depth=1
	s_mov_b64 s[16:17], s[4:5]
	s_mov_b32 s21, 0
	s_cbranch_execz .LBB1_186
	s_branch .LBB1_187
.LBB1_185:                              ;   in Loop: Header=BB1_145 Depth=1
                                        ; implicit-def: $vgpr28_vgpr29
	s_mov_b32 s21, 0
.LBB1_186:                              ;   in Loop: Header=BB1_145 Depth=1
	global_load_dwordx2 v[28:29], v17, s[4:5]
	s_add_i32 s21, s20, -8
.LBB1_187:                              ;   in Loop: Header=BB1_145 Depth=1
	s_cmp_gt_u32 s21, 7
	s_cbranch_scc1 .LBB1_192
; %bb.188:                              ;   in Loop: Header=BB1_145 Depth=1
	v_mov_b32_e32 v30, 0
	v_mov_b32_e32 v31, 0
	s_cmp_eq_u32 s21, 0
	s_cbranch_scc1 .LBB1_191
; %bb.189:                              ;   in Loop: Header=BB1_145 Depth=1
	s_mov_b64 s[4:5], 0
	s_mov_b64 s[18:19], s[16:17]
.LBB1_190:                              ;   Parent Loop BB1_145 Depth=1
                                        ; =>  This Inner Loop Header: Depth=2
	global_load_ubyte v0, v17, s[18:19]
	s_add_i32 s21, s21, -1
	s_waitcnt vmcnt(0)
	v_and_b32_e32 v16, 0xffff, v0
	v_lshlrev_b64 v[0:1], s4, v[16:17]
	s_add_u32 s4, s4, 8
	s_addc_u32 s5, s5, 0
	s_add_u32 s18, s18, 1
	s_addc_u32 s19, s19, 0
	s_cmp_lg_u32 s21, 0
	v_or_b32_e32 v30, v0, v30
	v_or_b32_e32 v31, v1, v31
	s_cbranch_scc1 .LBB1_190
.LBB1_191:                              ;   in Loop: Header=BB1_145 Depth=1
	s_cbranch_execz .LBB1_193
	s_branch .LBB1_194
.LBB1_192:                              ;   in Loop: Header=BB1_145 Depth=1
.LBB1_193:                              ;   in Loop: Header=BB1_145 Depth=1
	global_load_dwordx2 v[30:31], v17, s[16:17]
.LBB1_194:                              ;   in Loop: Header=BB1_145 Depth=1
	v_readfirstlane_b32 s4, v36
	v_mov_b32_e32 v0, 0
	v_mov_b32_e32 v1, 0
	v_cmp_eq_u32_e64 s4, s4, v36
	s_and_saveexec_b32 s5, s4
	s_cbranch_execz .LBB1_200
; %bb.195:                              ;   in Loop: Header=BB1_145 Depth=1
	global_load_dwordx2 v[34:35], v17, s[6:7] offset:24 glc dlc
	s_waitcnt vmcnt(0)
	buffer_gl1_inv
	buffer_gl0_inv
	s_clause 0x1
	global_load_dwordx2 v[0:1], v17, s[6:7] offset:40
	global_load_dwordx2 v[3:4], v17, s[6:7]
	s_mov_b32 s16, exec_lo
	s_waitcnt vmcnt(1)
	v_and_b32_e32 v1, v1, v35
	v_and_b32_e32 v0, v0, v34
	v_mul_lo_u32 v1, v1, 24
	v_mul_hi_u32 v16, v0, 24
	v_mul_lo_u32 v0, v0, 24
	v_add_nc_u32_e32 v1, v16, v1
	s_waitcnt vmcnt(0)
	v_add_co_u32 v0, vcc_lo, v3, v0
	v_add_co_ci_u32_e64 v1, null, v4, v1, vcc_lo
	global_load_dwordx2 v[32:33], v[0:1], off glc dlc
	s_waitcnt vmcnt(0)
	global_atomic_cmpswap_x2 v[0:1], v17, v[32:35], s[6:7] offset:24 glc
	s_waitcnt vmcnt(0)
	buffer_gl1_inv
	buffer_gl0_inv
	v_cmpx_ne_u64_e64 v[0:1], v[34:35]
	s_cbranch_execz .LBB1_199
; %bb.196:                              ;   in Loop: Header=BB1_145 Depth=1
	s_mov_b32 s17, 0
	.p2align	6
.LBB1_197:                              ;   Parent Loop BB1_145 Depth=1
                                        ; =>  This Inner Loop Header: Depth=2
	s_sleep 1
	s_clause 0x1
	global_load_dwordx2 v[3:4], v17, s[6:7] offset:40
	global_load_dwordx2 v[32:33], v17, s[6:7]
	v_mov_b32_e32 v35, v1
	v_mov_b32_e32 v34, v0
	s_waitcnt vmcnt(1)
	v_and_b32_e32 v0, v3, v34
	v_and_b32_e32 v3, v4, v35
	s_waitcnt vmcnt(0)
	v_mad_u64_u32 v[0:1], null, v0, 24, v[32:33]
	v_mad_u64_u32 v[3:4], null, v3, 24, v[1:2]
	v_mov_b32_e32 v1, v3
	global_load_dwordx2 v[32:33], v[0:1], off glc dlc
	s_waitcnt vmcnt(0)
	global_atomic_cmpswap_x2 v[0:1], v17, v[32:35], s[6:7] offset:24 glc
	s_waitcnt vmcnt(0)
	buffer_gl1_inv
	buffer_gl0_inv
	v_cmp_eq_u64_e32 vcc_lo, v[0:1], v[34:35]
	s_or_b32 s17, vcc_lo, s17
	s_andn2_b32 exec_lo, exec_lo, s17
	s_cbranch_execnz .LBB1_197
; %bb.198:                              ;   in Loop: Header=BB1_145 Depth=1
	s_or_b32 exec_lo, exec_lo, s17
.LBB1_199:                              ;   in Loop: Header=BB1_145 Depth=1
	s_or_b32 exec_lo, exec_lo, s16
.LBB1_200:                              ;   in Loop: Header=BB1_145 Depth=1
	s_or_b32 exec_lo, exec_lo, s5
	s_clause 0x1
	global_load_dwordx2 v[3:4], v17, s[6:7] offset:40
	global_load_dwordx4 v[32:35], v17, s[6:7]
	v_readfirstlane_b32 s17, v1
	v_readfirstlane_b32 s16, v0
	s_mov_b32 s5, exec_lo
	s_waitcnt vmcnt(1)
	v_readfirstlane_b32 s18, v3
	v_readfirstlane_b32 s19, v4
	s_and_b64 s[18:19], s[18:19], s[16:17]
	s_mul_i32 s20, s19, 24
	s_mul_hi_u32 s21, s18, 24
	s_mul_i32 s22, s18, 24
	s_add_i32 s21, s21, s20
	s_waitcnt vmcnt(0)
	v_add_co_u32 v0, vcc_lo, v32, s22
	v_add_co_ci_u32_e64 v1, null, s21, v33, vcc_lo
	s_and_saveexec_b32 s20, s4
	s_cbranch_execz .LBB1_202
; %bb.201:                              ;   in Loop: Header=BB1_145 Depth=1
	v_mov_b32_e32 v16, s5
	global_store_dwordx4 v[0:1], v[16:19], off offset:8
.LBB1_202:                              ;   in Loop: Header=BB1_145 Depth=1
	s_or_b32 exec_lo, exec_lo, s20
	v_cmp_lt_u64_e64 vcc_lo, s[12:13], 57
	s_lshl_b64 s[18:19], s[18:19], 12
	v_and_b32_e32 v4, 0xffffff1f, v12
	s_lshl_b32 s5, s14, 2
	s_add_i32 s5, s5, 28
	v_cndmask_b32_e32 v3, 0, v5, vcc_lo
	v_add_co_u32 v34, vcc_lo, v34, s18
	v_add_co_ci_u32_e64 v35, null, s19, v35, vcc_lo
	v_or_b32_e32 v3, v4, v3
	v_readfirstlane_b32 s18, v34
	v_readfirstlane_b32 s19, v35
	v_and_or_b32 v12, 0x1e0, s5, v3
	global_store_dwordx4 v37, v[20:23], s[18:19] offset:16
	global_store_dwordx4 v37, v[12:15], s[18:19]
	global_store_dwordx4 v37, v[24:27], s[18:19] offset:32
	global_store_dwordx4 v37, v[28:31], s[18:19] offset:48
	s_and_saveexec_b32 s5, s4
	s_cbranch_execz .LBB1_210
; %bb.203:                              ;   in Loop: Header=BB1_145 Depth=1
	s_clause 0x1
	global_load_dwordx2 v[22:23], v17, s[6:7] offset:32 glc dlc
	global_load_dwordx2 v[3:4], v17, s[6:7] offset:40
	v_mov_b32_e32 v20, s16
	v_mov_b32_e32 v21, s17
	s_waitcnt vmcnt(0)
	v_readfirstlane_b32 s18, v3
	v_readfirstlane_b32 s19, v4
	s_and_b64 s[18:19], s[18:19], s[16:17]
	s_mul_i32 s19, s19, 24
	s_mul_hi_u32 s20, s18, 24
	s_mul_i32 s18, s18, 24
	s_add_i32 s20, s20, s19
	v_add_co_u32 v3, vcc_lo, v32, s18
	v_add_co_ci_u32_e64 v4, null, s20, v33, vcc_lo
	s_mov_b32 s18, exec_lo
	global_store_dwordx2 v[3:4], v[22:23], off
	s_waitcnt_vscnt null, 0x0
	global_atomic_cmpswap_x2 v[14:15], v17, v[20:23], s[6:7] offset:32 glc
	s_waitcnt vmcnt(0)
	v_cmpx_ne_u64_e64 v[14:15], v[22:23]
	s_cbranch_execz .LBB1_206
; %bb.204:                              ;   in Loop: Header=BB1_145 Depth=1
	s_mov_b32 s19, 0
.LBB1_205:                              ;   Parent Loop BB1_145 Depth=1
                                        ; =>  This Inner Loop Header: Depth=2
	v_mov_b32_e32 v12, s16
	v_mov_b32_e32 v13, s17
	s_sleep 1
	global_store_dwordx2 v[3:4], v[14:15], off
	s_waitcnt_vscnt null, 0x0
	global_atomic_cmpswap_x2 v[12:13], v17, v[12:15], s[6:7] offset:32 glc
	s_waitcnt vmcnt(0)
	v_cmp_eq_u64_e32 vcc_lo, v[12:13], v[14:15]
	v_mov_b32_e32 v15, v13
	v_mov_b32_e32 v14, v12
	s_or_b32 s19, vcc_lo, s19
	s_andn2_b32 exec_lo, exec_lo, s19
	s_cbranch_execnz .LBB1_205
.LBB1_206:                              ;   in Loop: Header=BB1_145 Depth=1
	s_or_b32 exec_lo, exec_lo, s18
	global_load_dwordx2 v[3:4], v17, s[6:7] offset:16
	s_mov_b32 s19, exec_lo
	s_mov_b32 s18, exec_lo
	v_mbcnt_lo_u32_b32 v12, s19, 0
	v_cmpx_eq_u32_e32 0, v12
	s_cbranch_execz .LBB1_208
; %bb.207:                              ;   in Loop: Header=BB1_145 Depth=1
	s_bcnt1_i32_b32 s19, s19
	v_mov_b32_e32 v16, s19
	s_waitcnt vmcnt(0)
	global_atomic_add_x2 v[3:4], v[16:17], off offset:8
.LBB1_208:                              ;   in Loop: Header=BB1_145 Depth=1
	s_or_b32 exec_lo, exec_lo, s18
	s_waitcnt vmcnt(0)
	global_load_dwordx2 v[12:13], v[3:4], off offset:16
	s_waitcnt vmcnt(0)
	v_cmp_eq_u64_e32 vcc_lo, 0, v[12:13]
	s_cbranch_vccnz .LBB1_210
; %bb.209:                              ;   in Loop: Header=BB1_145 Depth=1
	global_load_dword v16, v[3:4], off offset:24
	s_waitcnt vmcnt(0)
	v_readfirstlane_b32 s18, v16
	s_waitcnt_vscnt null, 0x0
	global_store_dwordx2 v[12:13], v[16:17], off
	s_and_b32 m0, s18, 0x7fffff
	s_sendmsg sendmsg(MSG_INTERRUPT)
.LBB1_210:                              ;   in Loop: Header=BB1_145 Depth=1
	s_or_b32 exec_lo, exec_lo, s5
	v_add_co_u32 v3, vcc_lo, v34, v37
	v_add_co_ci_u32_e64 v4, null, 0, v35, vcc_lo
	s_branch .LBB1_214
	.p2align	6
.LBB1_211:                              ;   in Loop: Header=BB1_214 Depth=2
	s_or_b32 exec_lo, exec_lo, s5
	v_readfirstlane_b32 s5, v12
	s_cmp_eq_u32 s5, 0
	s_cbranch_scc1 .LBB1_213
; %bb.212:                              ;   in Loop: Header=BB1_214 Depth=2
	s_sleep 1
	s_cbranch_execnz .LBB1_214
	s_branch .LBB1_216
	.p2align	6
.LBB1_213:                              ;   in Loop: Header=BB1_145 Depth=1
	s_branch .LBB1_216
.LBB1_214:                              ;   Parent Loop BB1_145 Depth=1
                                        ; =>  This Inner Loop Header: Depth=2
	v_mov_b32_e32 v12, 1
	s_and_saveexec_b32 s5, s4
	s_cbranch_execz .LBB1_211
; %bb.215:                              ;   in Loop: Header=BB1_214 Depth=2
	global_load_dword v12, v[0:1], off offset:20 glc dlc
	s_waitcnt vmcnt(0)
	buffer_gl1_inv
	buffer_gl0_inv
	v_and_b32_e32 v12, 1, v12
	s_branch .LBB1_211
.LBB1_216:                              ;   in Loop: Header=BB1_145 Depth=1
	global_load_dwordx2 v[12:13], v[3:4], off
	s_and_saveexec_b32 s18, s4
	s_cbranch_execz .LBB1_144
; %bb.217:                              ;   in Loop: Header=BB1_145 Depth=1
	s_clause 0x2
	global_load_dwordx2 v[0:1], v17, s[6:7] offset:40
	global_load_dwordx2 v[24:25], v17, s[6:7] offset:24 glc dlc
	global_load_dwordx2 v[3:4], v17, s[6:7]
	s_waitcnt vmcnt(2)
	v_readfirstlane_b32 s20, v0
	v_readfirstlane_b32 s21, v1
	s_add_u32 s19, s20, 1
	s_addc_u32 s22, s21, 0
	s_add_u32 s4, s19, s16
	s_addc_u32 s5, s22, s17
	s_cmp_eq_u64 s[4:5], 0
	s_cselect_b32 s5, s22, s5
	s_cselect_b32 s4, s19, s4
	v_mov_b32_e32 v23, s5
	s_and_b64 s[16:17], s[4:5], s[20:21]
	v_mov_b32_e32 v22, s4
	s_mul_i32 s17, s17, 24
	s_mul_hi_u32 s19, s16, 24
	s_mul_i32 s16, s16, 24
	s_add_i32 s19, s19, s17
	s_waitcnt vmcnt(0)
	v_add_co_u32 v0, vcc_lo, v3, s16
	v_add_co_ci_u32_e64 v1, null, s19, v4, vcc_lo
	global_store_dwordx2 v[0:1], v[24:25], off
	s_waitcnt_vscnt null, 0x0
	global_atomic_cmpswap_x2 v[22:23], v17, v[22:25], s[6:7] offset:24 glc
	s_waitcnt vmcnt(0)
	v_cmp_ne_u64_e32 vcc_lo, v[22:23], v[24:25]
	s_and_b32 exec_lo, exec_lo, vcc_lo
	s_cbranch_execz .LBB1_144
; %bb.218:                              ;   in Loop: Header=BB1_145 Depth=1
	s_mov_b32 s16, 0
.LBB1_219:                              ;   Parent Loop BB1_145 Depth=1
                                        ; =>  This Inner Loop Header: Depth=2
	v_mov_b32_e32 v20, s4
	v_mov_b32_e32 v21, s5
	s_sleep 1
	global_store_dwordx2 v[0:1], v[22:23], off
	s_waitcnt_vscnt null, 0x0
	global_atomic_cmpswap_x2 v[3:4], v17, v[20:23], s[6:7] offset:24 glc
	s_waitcnt vmcnt(0)
	v_cmp_eq_u64_e32 vcc_lo, v[3:4], v[22:23]
	v_mov_b32_e32 v23, v4
	v_mov_b32_e32 v22, v3
	s_or_b32 s16, vcc_lo, s16
	s_andn2_b32 exec_lo, exec_lo, s16
	s_cbranch_execnz .LBB1_219
	s_branch .LBB1_144
.LBB1_220:
                                        ; implicit-def: $vgpr12_vgpr13
	s_cbranch_execnz .LBB1_222
	s_branch .LBB1_249
.LBB1_221:
	s_branch .LBB1_249
.LBB1_222:
	v_readfirstlane_b32 s4, v36
	v_mov_b32_e32 v0, 0
	v_mov_b32_e32 v1, 0
	v_cmp_eq_u32_e64 s4, s4, v36
	s_and_saveexec_b32 s5, s4
	s_cbranch_execz .LBB1_228
; %bb.223:
	v_mov_b32_e32 v3, 0
	s_mov_b32 s10, exec_lo
	global_load_dwordx2 v[14:15], v3, s[6:7] offset:24 glc dlc
	s_waitcnt vmcnt(0)
	buffer_gl1_inv
	buffer_gl0_inv
	s_clause 0x1
	global_load_dwordx2 v[0:1], v3, s[6:7] offset:40
	global_load_dwordx2 v[4:5], v3, s[6:7]
	s_waitcnt vmcnt(1)
	v_and_b32_e32 v1, v1, v15
	v_and_b32_e32 v0, v0, v14
	v_mul_lo_u32 v1, v1, 24
	v_mul_hi_u32 v12, v0, 24
	v_mul_lo_u32 v0, v0, 24
	v_add_nc_u32_e32 v1, v12, v1
	s_waitcnt vmcnt(0)
	v_add_co_u32 v0, vcc_lo, v4, v0
	v_add_co_ci_u32_e64 v1, null, v5, v1, vcc_lo
	global_load_dwordx2 v[12:13], v[0:1], off glc dlc
	s_waitcnt vmcnt(0)
	global_atomic_cmpswap_x2 v[0:1], v3, v[12:15], s[6:7] offset:24 glc
	s_waitcnt vmcnt(0)
	buffer_gl1_inv
	buffer_gl0_inv
	v_cmpx_ne_u64_e64 v[0:1], v[14:15]
	s_cbranch_execz .LBB1_227
; %bb.224:
	s_mov_b32 s11, 0
	.p2align	6
.LBB1_225:                              ; =>This Inner Loop Header: Depth=1
	s_sleep 1
	s_clause 0x1
	global_load_dwordx2 v[4:5], v3, s[6:7] offset:40
	global_load_dwordx2 v[12:13], v3, s[6:7]
	v_mov_b32_e32 v15, v1
	v_mov_b32_e32 v14, v0
	s_waitcnt vmcnt(1)
	v_and_b32_e32 v0, v4, v14
	v_and_b32_e32 v4, v5, v15
	s_waitcnt vmcnt(0)
	v_mad_u64_u32 v[0:1], null, v0, 24, v[12:13]
	v_mad_u64_u32 v[4:5], null, v4, 24, v[1:2]
	v_mov_b32_e32 v1, v4
	global_load_dwordx2 v[12:13], v[0:1], off glc dlc
	s_waitcnt vmcnt(0)
	global_atomic_cmpswap_x2 v[0:1], v3, v[12:15], s[6:7] offset:24 glc
	s_waitcnt vmcnt(0)
	buffer_gl1_inv
	buffer_gl0_inv
	v_cmp_eq_u64_e32 vcc_lo, v[0:1], v[14:15]
	s_or_b32 s11, vcc_lo, s11
	s_andn2_b32 exec_lo, exec_lo, s11
	s_cbranch_execnz .LBB1_225
; %bb.226:
	s_or_b32 exec_lo, exec_lo, s11
.LBB1_227:
	s_or_b32 exec_lo, exec_lo, s10
.LBB1_228:
	s_or_b32 exec_lo, exec_lo, s5
	s_waitcnt vmcnt(0)
	v_mov_b32_e32 v12, 0
	v_readfirstlane_b32 s11, v1
	v_readfirstlane_b32 s10, v0
	s_mov_b32 s5, exec_lo
	s_clause 0x1
	global_load_dwordx2 v[3:4], v12, s[6:7] offset:40
	global_load_dwordx4 v[14:17], v12, s[6:7]
	s_waitcnt vmcnt(1)
	v_readfirstlane_b32 s12, v3
	v_readfirstlane_b32 s13, v4
	s_and_b64 s[12:13], s[12:13], s[10:11]
	s_mul_i32 s14, s13, 24
	s_mul_hi_u32 s15, s12, 24
	s_mul_i32 s16, s12, 24
	s_add_i32 s15, s15, s14
	s_waitcnt vmcnt(0)
	v_add_co_u32 v0, vcc_lo, v14, s16
	v_add_co_ci_u32_e64 v1, null, s15, v15, vcc_lo
	s_and_saveexec_b32 s14, s4
	s_cbranch_execz .LBB1_230
; %bb.229:
	v_mov_b32_e32 v18, s5
	v_mov_b32_e32 v19, v12
	;; [unrolled: 1-line block ×4, first 2 shown]
	global_store_dwordx4 v[0:1], v[18:21], off offset:8
.LBB1_230:
	s_or_b32 exec_lo, exec_lo, s14
	s_lshl_b64 s[12:13], s[12:13], 12
	v_and_or_b32 v10, 0xffffff1f, v10, 32
	v_add_co_u32 v3, vcc_lo, v16, s12
	v_add_co_ci_u32_e64 v4, null, s13, v17, vcc_lo
	s_mov_b32 s12, 0
	v_readfirstlane_b32 s16, v3
	s_mov_b32 s15, s12
	v_add_co_u32 v3, vcc_lo, v3, v37
	s_mov_b32 s13, s12
	s_mov_b32 s14, s12
	v_mov_b32_e32 v13, v12
	v_readfirstlane_b32 s17, v4
	v_mov_b32_e32 v19, s15
	v_add_co_ci_u32_e64 v4, null, 0, v4, vcc_lo
	v_mov_b32_e32 v18, s14
	v_mov_b32_e32 v17, s13
	;; [unrolled: 1-line block ×3, first 2 shown]
	global_store_dwordx4 v37, v[10:13], s[16:17]
	global_store_dwordx4 v37, v[16:19], s[16:17] offset:16
	global_store_dwordx4 v37, v[16:19], s[16:17] offset:32
	;; [unrolled: 1-line block ×3, first 2 shown]
	s_and_saveexec_b32 s5, s4
	s_cbranch_execz .LBB1_238
; %bb.231:
	v_mov_b32_e32 v5, 0
	v_mov_b32_e32 v16, s10
	;; [unrolled: 1-line block ×3, first 2 shown]
	s_clause 0x1
	global_load_dwordx2 v[18:19], v5, s[6:7] offset:32 glc dlc
	global_load_dwordx2 v[10:11], v5, s[6:7] offset:40
	s_waitcnt vmcnt(0)
	v_readfirstlane_b32 s12, v10
	v_readfirstlane_b32 s13, v11
	s_and_b64 s[12:13], s[12:13], s[10:11]
	s_mul_i32 s13, s13, 24
	s_mul_hi_u32 s14, s12, 24
	s_mul_i32 s12, s12, 24
	s_add_i32 s14, s14, s13
	v_add_co_u32 v14, vcc_lo, v14, s12
	v_add_co_ci_u32_e64 v15, null, s14, v15, vcc_lo
	s_mov_b32 s12, exec_lo
	global_store_dwordx2 v[14:15], v[18:19], off
	s_waitcnt_vscnt null, 0x0
	global_atomic_cmpswap_x2 v[12:13], v5, v[16:19], s[6:7] offset:32 glc
	s_waitcnt vmcnt(0)
	v_cmpx_ne_u64_e64 v[12:13], v[18:19]
	s_cbranch_execz .LBB1_234
; %bb.232:
	s_mov_b32 s13, 0
.LBB1_233:                              ; =>This Inner Loop Header: Depth=1
	v_mov_b32_e32 v10, s10
	v_mov_b32_e32 v11, s11
	s_sleep 1
	global_store_dwordx2 v[14:15], v[12:13], off
	s_waitcnt_vscnt null, 0x0
	global_atomic_cmpswap_x2 v[10:11], v5, v[10:13], s[6:7] offset:32 glc
	s_waitcnt vmcnt(0)
	v_cmp_eq_u64_e32 vcc_lo, v[10:11], v[12:13]
	v_mov_b32_e32 v13, v11
	v_mov_b32_e32 v12, v10
	s_or_b32 s13, vcc_lo, s13
	s_andn2_b32 exec_lo, exec_lo, s13
	s_cbranch_execnz .LBB1_233
.LBB1_234:
	s_or_b32 exec_lo, exec_lo, s12
	v_mov_b32_e32 v13, 0
	s_mov_b32 s13, exec_lo
	s_mov_b32 s12, exec_lo
	v_mbcnt_lo_u32_b32 v5, s13, 0
	global_load_dwordx2 v[10:11], v13, s[6:7] offset:16
	v_cmpx_eq_u32_e32 0, v5
	s_cbranch_execz .LBB1_236
; %bb.235:
	s_bcnt1_i32_b32 s13, s13
	v_mov_b32_e32 v12, s13
	s_waitcnt vmcnt(0)
	global_atomic_add_x2 v[10:11], v[12:13], off offset:8
.LBB1_236:
	s_or_b32 exec_lo, exec_lo, s12
	s_waitcnt vmcnt(0)
	global_load_dwordx2 v[12:13], v[10:11], off offset:16
	s_waitcnt vmcnt(0)
	v_cmp_eq_u64_e32 vcc_lo, 0, v[12:13]
	s_cbranch_vccnz .LBB1_238
; %bb.237:
	global_load_dword v10, v[10:11], off offset:24
	v_mov_b32_e32 v11, 0
	s_waitcnt vmcnt(0)
	v_readfirstlane_b32 s12, v10
	s_waitcnt_vscnt null, 0x0
	global_store_dwordx2 v[12:13], v[10:11], off
	s_and_b32 m0, s12, 0x7fffff
	s_sendmsg sendmsg(MSG_INTERRUPT)
.LBB1_238:
	s_or_b32 exec_lo, exec_lo, s5
	s_branch .LBB1_242
	.p2align	6
.LBB1_239:                              ;   in Loop: Header=BB1_242 Depth=1
	s_or_b32 exec_lo, exec_lo, s5
	v_readfirstlane_b32 s5, v5
	s_cmp_eq_u32 s5, 0
	s_cbranch_scc1 .LBB1_241
; %bb.240:                              ;   in Loop: Header=BB1_242 Depth=1
	s_sleep 1
	s_cbranch_execnz .LBB1_242
	s_branch .LBB1_244
	.p2align	6
.LBB1_241:
	s_branch .LBB1_244
.LBB1_242:                              ; =>This Inner Loop Header: Depth=1
	v_mov_b32_e32 v5, 1
	s_and_saveexec_b32 s5, s4
	s_cbranch_execz .LBB1_239
; %bb.243:                              ;   in Loop: Header=BB1_242 Depth=1
	global_load_dword v5, v[0:1], off offset:20 glc dlc
	s_waitcnt vmcnt(0)
	buffer_gl1_inv
	buffer_gl0_inv
	v_and_b32_e32 v5, 1, v5
	s_branch .LBB1_239
.LBB1_244:
	global_load_dwordx2 v[12:13], v[3:4], off
	s_and_saveexec_b32 s12, s4
	s_cbranch_execz .LBB1_248
; %bb.245:
	v_mov_b32_e32 v3, 0
	s_clause 0x2
	global_load_dwordx2 v[0:1], v3, s[6:7] offset:40
	global_load_dwordx2 v[18:19], v3, s[6:7] offset:24 glc dlc
	global_load_dwordx2 v[4:5], v3, s[6:7]
	s_waitcnt vmcnt(2)
	v_readfirstlane_b32 s14, v0
	v_readfirstlane_b32 s15, v1
	s_add_u32 s13, s14, 1
	s_addc_u32 s16, s15, 0
	s_add_u32 s4, s13, s10
	s_addc_u32 s5, s16, s11
	s_cmp_eq_u64 s[4:5], 0
	s_cselect_b32 s5, s16, s5
	s_cselect_b32 s4, s13, s4
	v_mov_b32_e32 v17, s5
	s_and_b64 s[10:11], s[4:5], s[14:15]
	v_mov_b32_e32 v16, s4
	s_mul_i32 s11, s11, 24
	s_mul_hi_u32 s13, s10, 24
	s_mul_i32 s10, s10, 24
	s_add_i32 s13, s13, s11
	s_waitcnt vmcnt(0)
	v_add_co_u32 v0, vcc_lo, v4, s10
	v_add_co_ci_u32_e64 v1, null, s13, v5, vcc_lo
	global_store_dwordx2 v[0:1], v[18:19], off
	s_waitcnt_vscnt null, 0x0
	global_atomic_cmpswap_x2 v[16:17], v3, v[16:19], s[6:7] offset:24 glc
	s_waitcnt vmcnt(0)
	v_cmp_ne_u64_e32 vcc_lo, v[16:17], v[18:19]
	s_and_b32 exec_lo, exec_lo, vcc_lo
	s_cbranch_execz .LBB1_248
; %bb.246:
	s_mov_b32 s10, 0
.LBB1_247:                              ; =>This Inner Loop Header: Depth=1
	v_mov_b32_e32 v14, s4
	v_mov_b32_e32 v15, s5
	s_sleep 1
	global_store_dwordx2 v[0:1], v[16:17], off
	s_waitcnt_vscnt null, 0x0
	global_atomic_cmpswap_x2 v[4:5], v3, v[14:17], s[6:7] offset:24 glc
	s_waitcnt vmcnt(0)
	v_cmp_eq_u64_e32 vcc_lo, v[4:5], v[16:17]
	v_mov_b32_e32 v17, v5
	v_mov_b32_e32 v16, v4
	s_or_b32 s10, vcc_lo, s10
	s_andn2_b32 exec_lo, exec_lo, s10
	s_cbranch_execnz .LBB1_247
.LBB1_248:
	s_or_b32 exec_lo, exec_lo, s12
.LBB1_249:
	v_readfirstlane_b32 s4, v36
	v_mov_b32_e32 v0, 0
	v_mov_b32_e32 v1, 0
	v_cmp_eq_u32_e64 s4, s4, v36
	s_and_saveexec_b32 s5, s4
	s_cbranch_execz .LBB1_255
; %bb.250:
	v_mov_b32_e32 v3, 0
	s_mov_b32 s10, exec_lo
	global_load_dwordx2 v[16:17], v3, s[6:7] offset:24 glc dlc
	s_waitcnt vmcnt(0)
	buffer_gl1_inv
	buffer_gl0_inv
	s_clause 0x1
	global_load_dwordx2 v[0:1], v3, s[6:7] offset:40
	global_load_dwordx2 v[4:5], v3, s[6:7]
	s_waitcnt vmcnt(1)
	v_and_b32_e32 v1, v1, v17
	v_and_b32_e32 v0, v0, v16
	v_mul_lo_u32 v1, v1, 24
	v_mul_hi_u32 v10, v0, 24
	v_mul_lo_u32 v0, v0, 24
	v_add_nc_u32_e32 v1, v10, v1
	s_waitcnt vmcnt(0)
	v_add_co_u32 v0, vcc_lo, v4, v0
	v_add_co_ci_u32_e64 v1, null, v5, v1, vcc_lo
	global_load_dwordx2 v[14:15], v[0:1], off glc dlc
	s_waitcnt vmcnt(0)
	global_atomic_cmpswap_x2 v[0:1], v3, v[14:17], s[6:7] offset:24 glc
	s_waitcnt vmcnt(0)
	buffer_gl1_inv
	buffer_gl0_inv
	v_cmpx_ne_u64_e64 v[0:1], v[16:17]
	s_cbranch_execz .LBB1_254
; %bb.251:
	s_mov_b32 s11, 0
	.p2align	6
.LBB1_252:                              ; =>This Inner Loop Header: Depth=1
	s_sleep 1
	s_clause 0x1
	global_load_dwordx2 v[4:5], v3, s[6:7] offset:40
	global_load_dwordx2 v[10:11], v3, s[6:7]
	v_mov_b32_e32 v17, v1
	v_mov_b32_e32 v16, v0
	s_waitcnt vmcnt(1)
	v_and_b32_e32 v0, v4, v16
	v_and_b32_e32 v4, v5, v17
	s_waitcnt vmcnt(0)
	v_mad_u64_u32 v[0:1], null, v0, 24, v[10:11]
	v_mad_u64_u32 v[4:5], null, v4, 24, v[1:2]
	v_mov_b32_e32 v1, v4
	global_load_dwordx2 v[14:15], v[0:1], off glc dlc
	s_waitcnt vmcnt(0)
	global_atomic_cmpswap_x2 v[0:1], v3, v[14:17], s[6:7] offset:24 glc
	s_waitcnt vmcnt(0)
	buffer_gl1_inv
	buffer_gl0_inv
	v_cmp_eq_u64_e32 vcc_lo, v[0:1], v[16:17]
	s_or_b32 s11, vcc_lo, s11
	s_andn2_b32 exec_lo, exec_lo, s11
	s_cbranch_execnz .LBB1_252
; %bb.253:
	s_or_b32 exec_lo, exec_lo, s11
.LBB1_254:
	s_or_b32 exec_lo, exec_lo, s10
.LBB1_255:
	s_or_b32 exec_lo, exec_lo, s5
	v_mov_b32_e32 v15, 0
	v_readfirstlane_b32 s11, v1
	v_readfirstlane_b32 s10, v0
	s_mov_b32 s5, exec_lo
	s_clause 0x1
	global_load_dwordx2 v[3:4], v15, s[6:7] offset:40
	global_load_dwordx4 v[16:19], v15, s[6:7]
	s_waitcnt vmcnt(1)
	v_readfirstlane_b32 s12, v3
	v_readfirstlane_b32 s13, v4
	s_and_b64 s[12:13], s[12:13], s[10:11]
	s_mul_i32 s14, s13, 24
	s_mul_hi_u32 s15, s12, 24
	s_mul_i32 s16, s12, 24
	s_add_i32 s15, s15, s14
	s_waitcnt vmcnt(0)
	v_add_co_u32 v4, vcc_lo, v16, s16
	v_add_co_ci_u32_e64 v5, null, s15, v17, vcc_lo
	s_and_saveexec_b32 s14, s4
	s_cbranch_execz .LBB1_257
; %bb.256:
	v_mov_b32_e32 v14, s5
	v_mov_b32_e32 v21, v15
	;; [unrolled: 1-line block ×5, first 2 shown]
	global_store_dwordx4 v[4:5], v[20:23], off offset:8
.LBB1_257:
	s_or_b32 exec_lo, exec_lo, s14
	s_lshl_b64 s[12:13], s[12:13], 12
	v_and_or_b32 v12, 0xffffff1f, v12, 32
	v_add_co_u32 v10, vcc_lo, v18, s12
	v_add_co_ci_u32_e64 v11, null, s13, v19, vcc_lo
	s_mov_b32 s12, 0
	v_readfirstlane_b32 s16, v10
	v_add_co_u32 v10, vcc_lo, v10, v37
	s_mov_b32 s13, s12
	s_mov_b32 s14, s12
	;; [unrolled: 1-line block ×3, first 2 shown]
	v_mov_b32_e32 v14, v2
	v_readfirstlane_b32 s17, v11
	v_mov_b32_e32 v0, s12
	v_add_co_ci_u32_e64 v11, null, 0, v11, vcc_lo
	v_mov_b32_e32 v1, s13
	v_mov_b32_e32 v2, s14
	;; [unrolled: 1-line block ×3, first 2 shown]
	global_store_dwordx4 v37, v[12:15], s[16:17]
	global_store_dwordx4 v37, v[0:3], s[16:17] offset:16
	global_store_dwordx4 v37, v[0:3], s[16:17] offset:32
	;; [unrolled: 1-line block ×3, first 2 shown]
	s_and_saveexec_b32 s5, s4
	s_cbranch_execz .LBB1_265
; %bb.258:
	v_mov_b32_e32 v14, 0
	s_clause 0x1
	global_load_dwordx2 v[18:19], v14, s[6:7] offset:32 glc dlc
	global_load_dwordx2 v[0:1], v14, s[6:7] offset:40
	s_waitcnt vmcnt(0)
	v_readfirstlane_b32 s12, v0
	v_readfirstlane_b32 s13, v1
	s_and_b64 s[12:13], s[12:13], s[10:11]
	s_mul_i32 s13, s13, 24
	s_mul_hi_u32 s14, s12, 24
	s_mul_i32 s12, s12, 24
	s_add_i32 s14, s14, s13
	v_add_co_u32 v12, vcc_lo, v16, s12
	v_add_co_ci_u32_e64 v13, null, s14, v17, vcc_lo
	v_mov_b32_e32 v16, s10
	v_mov_b32_e32 v17, s11
	s_mov_b32 s12, exec_lo
	global_store_dwordx2 v[12:13], v[18:19], off
	s_waitcnt_vscnt null, 0x0
	global_atomic_cmpswap_x2 v[2:3], v14, v[16:19], s[6:7] offset:32 glc
	s_waitcnt vmcnt(0)
	v_cmpx_ne_u64_e64 v[2:3], v[18:19]
	s_cbranch_execz .LBB1_261
; %bb.259:
	s_mov_b32 s13, 0
.LBB1_260:                              ; =>This Inner Loop Header: Depth=1
	v_mov_b32_e32 v0, s10
	v_mov_b32_e32 v1, s11
	s_sleep 1
	global_store_dwordx2 v[12:13], v[2:3], off
	s_waitcnt_vscnt null, 0x0
	global_atomic_cmpswap_x2 v[0:1], v14, v[0:3], s[6:7] offset:32 glc
	s_waitcnt vmcnt(0)
	v_cmp_eq_u64_e32 vcc_lo, v[0:1], v[2:3]
	v_mov_b32_e32 v3, v1
	v_mov_b32_e32 v2, v0
	s_or_b32 s13, vcc_lo, s13
	s_andn2_b32 exec_lo, exec_lo, s13
	s_cbranch_execnz .LBB1_260
.LBB1_261:
	s_or_b32 exec_lo, exec_lo, s12
	v_mov_b32_e32 v3, 0
	s_mov_b32 s13, exec_lo
	s_mov_b32 s12, exec_lo
	v_mbcnt_lo_u32_b32 v2, s13, 0
	global_load_dwordx2 v[0:1], v3, s[6:7] offset:16
	v_cmpx_eq_u32_e32 0, v2
	s_cbranch_execz .LBB1_263
; %bb.262:
	s_bcnt1_i32_b32 s13, s13
	v_mov_b32_e32 v2, s13
	s_waitcnt vmcnt(0)
	global_atomic_add_x2 v[0:1], v[2:3], off offset:8
.LBB1_263:
	s_or_b32 exec_lo, exec_lo, s12
	s_waitcnt vmcnt(0)
	global_load_dwordx2 v[2:3], v[0:1], off offset:16
	s_waitcnt vmcnt(0)
	v_cmp_eq_u64_e32 vcc_lo, 0, v[2:3]
	s_cbranch_vccnz .LBB1_265
; %bb.264:
	global_load_dword v0, v[0:1], off offset:24
	v_mov_b32_e32 v1, 0
	s_waitcnt vmcnt(0)
	v_readfirstlane_b32 s12, v0
	s_waitcnt_vscnt null, 0x0
	global_store_dwordx2 v[2:3], v[0:1], off
	s_and_b32 m0, s12, 0x7fffff
	s_sendmsg sendmsg(MSG_INTERRUPT)
.LBB1_265:
	s_or_b32 exec_lo, exec_lo, s5
	s_branch .LBB1_269
	.p2align	6
.LBB1_266:                              ;   in Loop: Header=BB1_269 Depth=1
	s_or_b32 exec_lo, exec_lo, s5
	v_readfirstlane_b32 s5, v0
	s_cmp_eq_u32 s5, 0
	s_cbranch_scc1 .LBB1_268
; %bb.267:                              ;   in Loop: Header=BB1_269 Depth=1
	s_sleep 1
	s_cbranch_execnz .LBB1_269
	s_branch .LBB1_271
	.p2align	6
.LBB1_268:
	s_branch .LBB1_271
.LBB1_269:                              ; =>This Inner Loop Header: Depth=1
	v_mov_b32_e32 v0, 1
	s_and_saveexec_b32 s5, s4
	s_cbranch_execz .LBB1_266
; %bb.270:                              ;   in Loop: Header=BB1_269 Depth=1
	global_load_dword v0, v[4:5], off offset:20 glc dlc
	s_waitcnt vmcnt(0)
	buffer_gl1_inv
	buffer_gl0_inv
	v_and_b32_e32 v0, 1, v0
	s_branch .LBB1_266
.LBB1_271:
	global_load_dwordx2 v[0:1], v[10:11], off
	s_and_saveexec_b32 s12, s4
	s_cbranch_execz .LBB1_275
; %bb.272:
	v_mov_b32_e32 v12, 0
	s_clause 0x2
	global_load_dwordx2 v[2:3], v12, s[6:7] offset:40
	global_load_dwordx2 v[15:16], v12, s[6:7] offset:24 glc dlc
	global_load_dwordx2 v[4:5], v12, s[6:7]
	s_waitcnt vmcnt(2)
	v_readfirstlane_b32 s14, v2
	v_readfirstlane_b32 s15, v3
	s_add_u32 s13, s14, 1
	s_addc_u32 s16, s15, 0
	s_add_u32 s4, s13, s10
	s_addc_u32 s5, s16, s11
	s_cmp_eq_u64 s[4:5], 0
	s_cselect_b32 s5, s16, s5
	s_cselect_b32 s4, s13, s4
	v_mov_b32_e32 v14, s5
	s_and_b64 s[10:11], s[4:5], s[14:15]
	v_mov_b32_e32 v13, s4
	s_mul_i32 s11, s11, 24
	s_mul_hi_u32 s13, s10, 24
	s_mul_i32 s10, s10, 24
	s_add_i32 s13, s13, s11
	s_waitcnt vmcnt(0)
	v_add_co_u32 v10, vcc_lo, v4, s10
	v_add_co_ci_u32_e64 v11, null, s13, v5, vcc_lo
	global_store_dwordx2 v[10:11], v[15:16], off
	s_waitcnt_vscnt null, 0x0
	global_atomic_cmpswap_x2 v[4:5], v12, v[13:16], s[6:7] offset:24 glc
	s_waitcnt vmcnt(0)
	v_cmp_ne_u64_e32 vcc_lo, v[4:5], v[15:16]
	s_and_b32 exec_lo, exec_lo, vcc_lo
	s_cbranch_execz .LBB1_275
; %bb.273:
	s_mov_b32 s10, 0
.LBB1_274:                              ; =>This Inner Loop Header: Depth=1
	v_mov_b32_e32 v2, s4
	v_mov_b32_e32 v3, s5
	s_sleep 1
	global_store_dwordx2 v[10:11], v[4:5], off
	s_waitcnt_vscnt null, 0x0
	global_atomic_cmpswap_x2 v[2:3], v12, v[2:5], s[6:7] offset:24 glc
	s_waitcnt vmcnt(0)
	v_cmp_eq_u64_e32 vcc_lo, v[2:3], v[4:5]
	v_mov_b32_e32 v5, v3
	v_mov_b32_e32 v4, v2
	s_or_b32 s10, vcc_lo, s10
	s_andn2_b32 exec_lo, exec_lo, s10
	s_cbranch_execnz .LBB1_274
.LBB1_275:
	s_or_b32 exec_lo, exec_lo, s12
	v_mov_b32_e32 v3, v6
	v_mov_b32_e32 v4, v7
	s_mov_b32 s4, 0
.LBB1_276:                              ; =>This Inner Loop Header: Depth=1
	global_load_ubyte v5, v[3:4], off
	v_add_co_u32 v2, vcc_lo, v3, 1
	v_add_co_ci_u32_e64 v3, null, 0, v4, vcc_lo
	v_mov_b32_e32 v4, v3
	v_mov_b32_e32 v3, v2
	s_waitcnt vmcnt(0)
	v_cmp_eq_u16_e32 vcc_lo, 0, v5
	s_or_b32 s4, vcc_lo, s4
	s_andn2_b32 exec_lo, exec_lo, s4
	s_cbranch_execnz .LBB1_276
; %bb.277:
	s_or_b32 exec_lo, exec_lo, s4
	s_mov_b32 s4, exec_lo
	v_cmpx_ne_u64_e32 0, v[6:7]
	s_xor_b32 s14, exec_lo, s4
	s_cbranch_execz .LBB1_363
; %bb.278:
	v_sub_nc_u32_e32 v30, v2, v6
	v_and_b32_e32 v34, 2, v0
	v_mov_b32_e32 v11, 0
	v_and_b32_e32 v0, -3, v0
	v_mov_b32_e32 v12, 2
	v_ashrrev_i32_e32 v31, 31, v30
	v_mov_b32_e32 v13, 1
	s_mov_b32 s16, 0
	s_mov_b32 s15, 0
	s_branch .LBB1_280
.LBB1_279:                              ;   in Loop: Header=BB1_280 Depth=1
	s_or_b32 exec_lo, exec_lo, s12
	v_sub_co_u32 v30, vcc_lo, v30, v32
	v_sub_co_ci_u32_e64 v31, null, v31, v33, vcc_lo
	v_add_co_u32 v6, s4, v6, v32
	v_add_co_ci_u32_e64 v7, null, v7, v33, s4
	v_cmp_eq_u64_e32 vcc_lo, 0, v[30:31]
	s_or_b32 s15, vcc_lo, s15
	s_andn2_b32 exec_lo, exec_lo, s15
	s_cbranch_execz .LBB1_362
.LBB1_280:                              ; =>This Loop Header: Depth=1
                                        ;     Child Loop BB1_283 Depth 2
                                        ;     Child Loop BB1_291 Depth 2
	;; [unrolled: 1-line block ×11, first 2 shown]
	v_cmp_gt_u64_e32 vcc_lo, 56, v[30:31]
	s_mov_b32 s5, exec_lo
	v_cndmask_b32_e32 v33, 0, v31, vcc_lo
	v_cndmask_b32_e32 v32, 56, v30, vcc_lo
	v_add_co_u32 v16, vcc_lo, v6, 8
	v_add_co_ci_u32_e64 v17, null, 0, v7, vcc_lo
	v_cmpx_gt_u64_e32 8, v[30:31]
	s_xor_b32 s5, exec_lo, s5
	s_cbranch_execz .LBB1_286
; %bb.281:                              ;   in Loop: Header=BB1_280 Depth=1
	v_mov_b32_e32 v2, 0
	v_mov_b32_e32 v3, 0
	s_mov_b32 s12, exec_lo
	v_cmpx_ne_u64_e32 0, v[30:31]
	s_cbranch_execz .LBB1_285
; %bb.282:                              ;   in Loop: Header=BB1_280 Depth=1
	v_lshlrev_b64 v[4:5], 3, v[32:33]
	v_mov_b32_e32 v2, 0
	v_mov_b32_e32 v15, v7
	;; [unrolled: 1-line block ×4, first 2 shown]
	s_mov_b64 s[10:11], 0
	s_mov_b32 s13, 0
	.p2align	6
.LBB1_283:                              ;   Parent Loop BB1_280 Depth=1
                                        ; =>  This Inner Loop Header: Depth=2
	global_load_ubyte v5, v[14:15], off
	v_mov_b32_e32 v17, s16
	v_add_co_u32 v14, vcc_lo, v14, 1
	v_add_co_ci_u32_e64 v15, null, 0, v15, vcc_lo
	s_waitcnt vmcnt(0)
	v_and_b32_e32 v16, 0xffff, v5
	v_lshlrev_b64 v[16:17], s10, v[16:17]
	s_add_u32 s10, s10, 8
	s_addc_u32 s11, s11, 0
	v_cmp_eq_u32_e64 s4, s10, v4
	v_or_b32_e32 v3, v17, v3
	v_or_b32_e32 v2, v16, v2
	s_or_b32 s13, s4, s13
	s_andn2_b32 exec_lo, exec_lo, s13
	s_cbranch_execnz .LBB1_283
; %bb.284:                              ;   in Loop: Header=BB1_280 Depth=1
	s_or_b32 exec_lo, exec_lo, s13
.LBB1_285:                              ;   in Loop: Header=BB1_280 Depth=1
	s_or_b32 exec_lo, exec_lo, s12
	v_mov_b32_e32 v17, v7
	v_mov_b32_e32 v16, v6
.LBB1_286:                              ;   in Loop: Header=BB1_280 Depth=1
	s_or_saveexec_b32 s4, s5
	v_mov_b32_e32 v10, 0
	s_xor_b32 exec_lo, exec_lo, s4
	s_cbranch_execz .LBB1_288
; %bb.287:                              ;   in Loop: Header=BB1_280 Depth=1
	global_load_dwordx2 v[2:3], v[6:7], off
	v_add_nc_u32_e32 v10, -8, v32
.LBB1_288:                              ;   in Loop: Header=BB1_280 Depth=1
	s_or_b32 exec_lo, exec_lo, s4
	v_add_co_u32 v4, s4, v16, 8
	v_add_co_ci_u32_e64 v5, null, 0, v17, s4
                                        ; implicit-def: $vgpr14_vgpr15
	s_mov_b32 s4, exec_lo
	v_cmpx_gt_u32_e32 8, v10
	s_xor_b32 s12, exec_lo, s4
	s_cbranch_execz .LBB1_294
; %bb.289:                              ;   in Loop: Header=BB1_280 Depth=1
	v_mov_b32_e32 v14, 0
	v_mov_b32_e32 v15, 0
	s_mov_b32 s13, exec_lo
	v_cmpx_ne_u32_e32 0, v10
	s_cbranch_execz .LBB1_293
; %bb.290:                              ;   in Loop: Header=BB1_280 Depth=1
	v_mov_b32_e32 v14, 0
	v_mov_b32_e32 v15, 0
	s_mov_b64 s[4:5], 0
	s_mov_b32 s17, 0
	s_mov_b64 s[10:11], 0
	.p2align	6
.LBB1_291:                              ;   Parent Loop BB1_280 Depth=1
                                        ; =>  This Inner Loop Header: Depth=2
	v_add_co_u32 v4, vcc_lo, v16, s10
	v_add_co_ci_u32_e64 v5, null, s11, v17, vcc_lo
	s_add_u32 s10, s10, 1
	s_addc_u32 s11, s11, 0
	v_cmp_eq_u32_e32 vcc_lo, s10, v10
	global_load_ubyte v4, v[4:5], off
	v_mov_b32_e32 v5, s16
	s_waitcnt vmcnt(0)
	v_and_b32_e32 v4, 0xffff, v4
	v_lshlrev_b64 v[4:5], s4, v[4:5]
	s_add_u32 s4, s4, 8
	s_addc_u32 s5, s5, 0
	s_or_b32 s17, vcc_lo, s17
	v_or_b32_e32 v15, v5, v15
	v_or_b32_e32 v14, v4, v14
	s_andn2_b32 exec_lo, exec_lo, s17
	s_cbranch_execnz .LBB1_291
; %bb.292:                              ;   in Loop: Header=BB1_280 Depth=1
	s_or_b32 exec_lo, exec_lo, s17
.LBB1_293:                              ;   in Loop: Header=BB1_280 Depth=1
	s_or_b32 exec_lo, exec_lo, s13
	v_mov_b32_e32 v4, v16
	v_mov_b32_e32 v5, v17
                                        ; implicit-def: $vgpr10
.LBB1_294:                              ;   in Loop: Header=BB1_280 Depth=1
	s_or_saveexec_b32 s4, s12
	v_mov_b32_e32 v18, 0
	s_xor_b32 exec_lo, exec_lo, s4
	s_cbranch_execz .LBB1_296
; %bb.295:                              ;   in Loop: Header=BB1_280 Depth=1
	global_load_dwordx2 v[14:15], v[16:17], off
	v_add_nc_u32_e32 v18, -8, v10
.LBB1_296:                              ;   in Loop: Header=BB1_280 Depth=1
	s_or_b32 exec_lo, exec_lo, s4
	v_add_co_u32 v20, s4, v4, 8
	v_add_co_ci_u32_e64 v21, null, 0, v5, s4
	s_mov_b32 s4, exec_lo
	v_cmpx_gt_u32_e32 8, v18
	s_xor_b32 s12, exec_lo, s4
	s_cbranch_execz .LBB1_302
; %bb.297:                              ;   in Loop: Header=BB1_280 Depth=1
	v_mov_b32_e32 v16, 0
	v_mov_b32_e32 v17, 0
	s_mov_b32 s13, exec_lo
	v_cmpx_ne_u32_e32 0, v18
	s_cbranch_execz .LBB1_301
; %bb.298:                              ;   in Loop: Header=BB1_280 Depth=1
	v_mov_b32_e32 v16, 0
	v_mov_b32_e32 v17, 0
	s_mov_b64 s[4:5], 0
	s_mov_b32 s17, 0
	s_mov_b64 s[10:11], 0
	.p2align	6
.LBB1_299:                              ;   Parent Loop BB1_280 Depth=1
                                        ; =>  This Inner Loop Header: Depth=2
	v_add_co_u32 v19, vcc_lo, v4, s10
	v_add_co_ci_u32_e64 v20, null, s11, v5, vcc_lo
	s_add_u32 s10, s10, 1
	s_addc_u32 s11, s11, 0
	v_cmp_eq_u32_e32 vcc_lo, s10, v18
	global_load_ubyte v10, v[19:20], off
	v_mov_b32_e32 v20, s16
	s_waitcnt vmcnt(0)
	v_and_b32_e32 v19, 0xffff, v10
	v_lshlrev_b64 v[19:20], s4, v[19:20]
	s_add_u32 s4, s4, 8
	s_addc_u32 s5, s5, 0
	s_or_b32 s17, vcc_lo, s17
	v_or_b32_e32 v17, v20, v17
	v_or_b32_e32 v16, v19, v16
	s_andn2_b32 exec_lo, exec_lo, s17
	s_cbranch_execnz .LBB1_299
; %bb.300:                              ;   in Loop: Header=BB1_280 Depth=1
	s_or_b32 exec_lo, exec_lo, s17
.LBB1_301:                              ;   in Loop: Header=BB1_280 Depth=1
	s_or_b32 exec_lo, exec_lo, s13
	v_mov_b32_e32 v21, v5
	v_mov_b32_e32 v20, v4
                                        ; implicit-def: $vgpr18
.LBB1_302:                              ;   in Loop: Header=BB1_280 Depth=1
	s_or_saveexec_b32 s4, s12
	v_mov_b32_e32 v10, 0
	s_xor_b32 exec_lo, exec_lo, s4
	s_cbranch_execz .LBB1_304
; %bb.303:                              ;   in Loop: Header=BB1_280 Depth=1
	global_load_dwordx2 v[16:17], v[4:5], off
	v_add_nc_u32_e32 v10, -8, v18
.LBB1_304:                              ;   in Loop: Header=BB1_280 Depth=1
	s_or_b32 exec_lo, exec_lo, s4
	v_add_co_u32 v4, s4, v20, 8
	v_add_co_ci_u32_e64 v5, null, 0, v21, s4
                                        ; implicit-def: $vgpr18_vgpr19
	s_mov_b32 s4, exec_lo
	v_cmpx_gt_u32_e32 8, v10
	s_xor_b32 s12, exec_lo, s4
	s_cbranch_execz .LBB1_310
; %bb.305:                              ;   in Loop: Header=BB1_280 Depth=1
	v_mov_b32_e32 v18, 0
	v_mov_b32_e32 v19, 0
	s_mov_b32 s13, exec_lo
	v_cmpx_ne_u32_e32 0, v10
	s_cbranch_execz .LBB1_309
; %bb.306:                              ;   in Loop: Header=BB1_280 Depth=1
	v_mov_b32_e32 v18, 0
	v_mov_b32_e32 v19, 0
	s_mov_b64 s[4:5], 0
	s_mov_b32 s17, 0
	s_mov_b64 s[10:11], 0
	.p2align	6
.LBB1_307:                              ;   Parent Loop BB1_280 Depth=1
                                        ; =>  This Inner Loop Header: Depth=2
	v_add_co_u32 v4, vcc_lo, v20, s10
	v_add_co_ci_u32_e64 v5, null, s11, v21, vcc_lo
	s_add_u32 s10, s10, 1
	s_addc_u32 s11, s11, 0
	v_cmp_eq_u32_e32 vcc_lo, s10, v10
	global_load_ubyte v4, v[4:5], off
	v_mov_b32_e32 v5, s16
	s_waitcnt vmcnt(0)
	v_and_b32_e32 v4, 0xffff, v4
	v_lshlrev_b64 v[4:5], s4, v[4:5]
	s_add_u32 s4, s4, 8
	s_addc_u32 s5, s5, 0
	s_or_b32 s17, vcc_lo, s17
	v_or_b32_e32 v19, v5, v19
	v_or_b32_e32 v18, v4, v18
	s_andn2_b32 exec_lo, exec_lo, s17
	s_cbranch_execnz .LBB1_307
; %bb.308:                              ;   in Loop: Header=BB1_280 Depth=1
	s_or_b32 exec_lo, exec_lo, s17
.LBB1_309:                              ;   in Loop: Header=BB1_280 Depth=1
	s_or_b32 exec_lo, exec_lo, s13
	v_mov_b32_e32 v4, v20
	v_mov_b32_e32 v5, v21
                                        ; implicit-def: $vgpr10
.LBB1_310:                              ;   in Loop: Header=BB1_280 Depth=1
	s_or_saveexec_b32 s4, s12
	v_mov_b32_e32 v22, 0
	s_xor_b32 exec_lo, exec_lo, s4
	s_cbranch_execz .LBB1_312
; %bb.311:                              ;   in Loop: Header=BB1_280 Depth=1
	global_load_dwordx2 v[18:19], v[20:21], off
	v_add_nc_u32_e32 v22, -8, v10
.LBB1_312:                              ;   in Loop: Header=BB1_280 Depth=1
	s_or_b32 exec_lo, exec_lo, s4
	v_add_co_u32 v24, s4, v4, 8
	v_add_co_ci_u32_e64 v25, null, 0, v5, s4
	s_mov_b32 s4, exec_lo
	v_cmpx_gt_u32_e32 8, v22
	s_xor_b32 s12, exec_lo, s4
	s_cbranch_execz .LBB1_318
; %bb.313:                              ;   in Loop: Header=BB1_280 Depth=1
	v_mov_b32_e32 v20, 0
	v_mov_b32_e32 v21, 0
	s_mov_b32 s13, exec_lo
	v_cmpx_ne_u32_e32 0, v22
	s_cbranch_execz .LBB1_317
; %bb.314:                              ;   in Loop: Header=BB1_280 Depth=1
	v_mov_b32_e32 v20, 0
	v_mov_b32_e32 v21, 0
	s_mov_b64 s[4:5], 0
	s_mov_b32 s17, 0
	s_mov_b64 s[10:11], 0
	.p2align	6
.LBB1_315:                              ;   Parent Loop BB1_280 Depth=1
                                        ; =>  This Inner Loop Header: Depth=2
	v_add_co_u32 v23, vcc_lo, v4, s10
	v_add_co_ci_u32_e64 v24, null, s11, v5, vcc_lo
	s_add_u32 s10, s10, 1
	s_addc_u32 s11, s11, 0
	v_cmp_eq_u32_e32 vcc_lo, s10, v22
	global_load_ubyte v10, v[23:24], off
	v_mov_b32_e32 v24, s16
	s_waitcnt vmcnt(0)
	v_and_b32_e32 v23, 0xffff, v10
	v_lshlrev_b64 v[23:24], s4, v[23:24]
	s_add_u32 s4, s4, 8
	s_addc_u32 s5, s5, 0
	s_or_b32 s17, vcc_lo, s17
	v_or_b32_e32 v21, v24, v21
	v_or_b32_e32 v20, v23, v20
	s_andn2_b32 exec_lo, exec_lo, s17
	s_cbranch_execnz .LBB1_315
; %bb.316:                              ;   in Loop: Header=BB1_280 Depth=1
	s_or_b32 exec_lo, exec_lo, s17
.LBB1_317:                              ;   in Loop: Header=BB1_280 Depth=1
	s_or_b32 exec_lo, exec_lo, s13
	v_mov_b32_e32 v25, v5
	v_mov_b32_e32 v24, v4
                                        ; implicit-def: $vgpr22
.LBB1_318:                              ;   in Loop: Header=BB1_280 Depth=1
	s_or_saveexec_b32 s4, s12
	v_mov_b32_e32 v10, 0
	s_xor_b32 exec_lo, exec_lo, s4
	s_cbranch_execz .LBB1_320
; %bb.319:                              ;   in Loop: Header=BB1_280 Depth=1
	global_load_dwordx2 v[20:21], v[4:5], off
	v_add_nc_u32_e32 v10, -8, v22
.LBB1_320:                              ;   in Loop: Header=BB1_280 Depth=1
	s_or_b32 exec_lo, exec_lo, s4
	v_add_co_u32 v4, s4, v24, 8
	v_add_co_ci_u32_e64 v5, null, 0, v25, s4
                                        ; implicit-def: $vgpr22_vgpr23
	s_mov_b32 s4, exec_lo
	v_cmpx_gt_u32_e32 8, v10
	s_xor_b32 s12, exec_lo, s4
	s_cbranch_execz .LBB1_326
; %bb.321:                              ;   in Loop: Header=BB1_280 Depth=1
	v_mov_b32_e32 v22, 0
	v_mov_b32_e32 v23, 0
	s_mov_b32 s13, exec_lo
	v_cmpx_ne_u32_e32 0, v10
	s_cbranch_execz .LBB1_325
; %bb.322:                              ;   in Loop: Header=BB1_280 Depth=1
	v_mov_b32_e32 v22, 0
	v_mov_b32_e32 v23, 0
	s_mov_b64 s[4:5], 0
	s_mov_b32 s17, 0
	s_mov_b64 s[10:11], 0
	.p2align	6
.LBB1_323:                              ;   Parent Loop BB1_280 Depth=1
                                        ; =>  This Inner Loop Header: Depth=2
	v_add_co_u32 v4, vcc_lo, v24, s10
	v_add_co_ci_u32_e64 v5, null, s11, v25, vcc_lo
	s_add_u32 s10, s10, 1
	s_addc_u32 s11, s11, 0
	v_cmp_eq_u32_e32 vcc_lo, s10, v10
	global_load_ubyte v4, v[4:5], off
	v_mov_b32_e32 v5, s16
	s_waitcnt vmcnt(0)
	v_and_b32_e32 v4, 0xffff, v4
	v_lshlrev_b64 v[4:5], s4, v[4:5]
	s_add_u32 s4, s4, 8
	s_addc_u32 s5, s5, 0
	s_or_b32 s17, vcc_lo, s17
	v_or_b32_e32 v23, v5, v23
	v_or_b32_e32 v22, v4, v22
	s_andn2_b32 exec_lo, exec_lo, s17
	s_cbranch_execnz .LBB1_323
; %bb.324:                              ;   in Loop: Header=BB1_280 Depth=1
	s_or_b32 exec_lo, exec_lo, s17
.LBB1_325:                              ;   in Loop: Header=BB1_280 Depth=1
	s_or_b32 exec_lo, exec_lo, s13
	v_mov_b32_e32 v4, v24
	v_mov_b32_e32 v5, v25
                                        ; implicit-def: $vgpr10
.LBB1_326:                              ;   in Loop: Header=BB1_280 Depth=1
	s_or_saveexec_b32 s4, s12
	v_mov_b32_e32 v26, 0
	s_xor_b32 exec_lo, exec_lo, s4
	s_cbranch_execz .LBB1_328
; %bb.327:                              ;   in Loop: Header=BB1_280 Depth=1
	global_load_dwordx2 v[22:23], v[24:25], off
	v_add_nc_u32_e32 v26, -8, v10
.LBB1_328:                              ;   in Loop: Header=BB1_280 Depth=1
	s_or_b32 exec_lo, exec_lo, s4
	s_mov_b32 s4, exec_lo
	v_cmpx_gt_u32_e32 8, v26
	s_xor_b32 s10, exec_lo, s4
	s_cbranch_execz .LBB1_334
; %bb.329:                              ;   in Loop: Header=BB1_280 Depth=1
	v_mov_b32_e32 v24, 0
	v_mov_b32_e32 v25, 0
	s_mov_b32 s11, exec_lo
	v_cmpx_ne_u32_e32 0, v26
	s_cbranch_execz .LBB1_333
; %bb.330:                              ;   in Loop: Header=BB1_280 Depth=1
	v_mov_b32_e32 v24, 0
	v_mov_b32_e32 v25, 0
	s_mov_b64 s[4:5], 0
	s_mov_b32 s12, 0
	.p2align	6
.LBB1_331:                              ;   Parent Loop BB1_280 Depth=1
                                        ; =>  This Inner Loop Header: Depth=2
	global_load_ubyte v10, v[4:5], off
	v_mov_b32_e32 v28, s16
	v_add_nc_u32_e32 v26, -1, v26
	v_add_co_u32 v4, vcc_lo, v4, 1
	v_add_co_ci_u32_e64 v5, null, 0, v5, vcc_lo
	v_cmp_eq_u32_e32 vcc_lo, 0, v26
	s_waitcnt vmcnt(0)
	v_and_b32_e32 v27, 0xffff, v10
	v_lshlrev_b64 v[27:28], s4, v[27:28]
	s_add_u32 s4, s4, 8
	s_addc_u32 s5, s5, 0
	s_or_b32 s12, vcc_lo, s12
	v_or_b32_e32 v25, v28, v25
	v_or_b32_e32 v24, v27, v24
	s_andn2_b32 exec_lo, exec_lo, s12
	s_cbranch_execnz .LBB1_331
; %bb.332:                              ;   in Loop: Header=BB1_280 Depth=1
	s_or_b32 exec_lo, exec_lo, s12
.LBB1_333:                              ;   in Loop: Header=BB1_280 Depth=1
	s_or_b32 exec_lo, exec_lo, s11
                                        ; implicit-def: $vgpr4_vgpr5
.LBB1_334:                              ;   in Loop: Header=BB1_280 Depth=1
	s_andn2_saveexec_b32 s4, s10
	s_cbranch_execz .LBB1_336
; %bb.335:                              ;   in Loop: Header=BB1_280 Depth=1
	global_load_dwordx2 v[24:25], v[4:5], off
.LBB1_336:                              ;   in Loop: Header=BB1_280 Depth=1
	s_or_b32 exec_lo, exec_lo, s4
	v_readfirstlane_b32 s4, v36
	v_mov_b32_e32 v4, 0
	v_mov_b32_e32 v5, 0
	v_cmp_eq_u32_e64 s4, s4, v36
	s_and_saveexec_b32 s5, s4
	s_cbranch_execz .LBB1_342
; %bb.337:                              ;   in Loop: Header=BB1_280 Depth=1
	global_load_dwordx2 v[28:29], v11, s[6:7] offset:24 glc dlc
	s_waitcnt vmcnt(0)
	buffer_gl1_inv
	buffer_gl0_inv
	s_clause 0x1
	global_load_dwordx2 v[4:5], v11, s[6:7] offset:40
	global_load_dwordx2 v[26:27], v11, s[6:7]
	s_mov_b32 s10, exec_lo
	s_waitcnt vmcnt(1)
	v_and_b32_e32 v5, v5, v29
	v_and_b32_e32 v4, v4, v28
	v_mul_lo_u32 v5, v5, 24
	v_mul_hi_u32 v10, v4, 24
	v_mul_lo_u32 v4, v4, 24
	v_add_nc_u32_e32 v5, v10, v5
	s_waitcnt vmcnt(0)
	v_add_co_u32 v4, vcc_lo, v26, v4
	v_add_co_ci_u32_e64 v5, null, v27, v5, vcc_lo
	global_load_dwordx2 v[26:27], v[4:5], off glc dlc
	s_waitcnt vmcnt(0)
	global_atomic_cmpswap_x2 v[4:5], v11, v[26:29], s[6:7] offset:24 glc
	s_waitcnt vmcnt(0)
	buffer_gl1_inv
	buffer_gl0_inv
	v_cmpx_ne_u64_e64 v[4:5], v[28:29]
	s_cbranch_execz .LBB1_341
; %bb.338:                              ;   in Loop: Header=BB1_280 Depth=1
	s_mov_b32 s11, 0
	.p2align	6
.LBB1_339:                              ;   Parent Loop BB1_280 Depth=1
                                        ; =>  This Inner Loop Header: Depth=2
	s_sleep 1
	s_clause 0x1
	global_load_dwordx2 v[26:27], v11, s[6:7] offset:40
	global_load_dwordx2 v[38:39], v11, s[6:7]
	v_mov_b32_e32 v29, v5
	v_mov_b32_e32 v28, v4
	s_waitcnt vmcnt(1)
	v_and_b32_e32 v4, v26, v28
	v_and_b32_e32 v10, v27, v29
	s_waitcnt vmcnt(0)
	v_mad_u64_u32 v[4:5], null, v4, 24, v[38:39]
	v_mad_u64_u32 v[26:27], null, v10, 24, v[5:6]
	v_mov_b32_e32 v5, v26
	global_load_dwordx2 v[26:27], v[4:5], off glc dlc
	s_waitcnt vmcnt(0)
	global_atomic_cmpswap_x2 v[4:5], v11, v[26:29], s[6:7] offset:24 glc
	s_waitcnt vmcnt(0)
	buffer_gl1_inv
	buffer_gl0_inv
	v_cmp_eq_u64_e32 vcc_lo, v[4:5], v[28:29]
	s_or_b32 s11, vcc_lo, s11
	s_andn2_b32 exec_lo, exec_lo, s11
	s_cbranch_execnz .LBB1_339
; %bb.340:                              ;   in Loop: Header=BB1_280 Depth=1
	s_or_b32 exec_lo, exec_lo, s11
.LBB1_341:                              ;   in Loop: Header=BB1_280 Depth=1
	s_or_b32 exec_lo, exec_lo, s10
.LBB1_342:                              ;   in Loop: Header=BB1_280 Depth=1
	s_or_b32 exec_lo, exec_lo, s5
	s_clause 0x1
	global_load_dwordx2 v[38:39], v11, s[6:7] offset:40
	global_load_dwordx4 v[26:29], v11, s[6:7]
	v_readfirstlane_b32 s11, v5
	v_readfirstlane_b32 s10, v4
	s_mov_b32 s5, exec_lo
	s_waitcnt vmcnt(1)
	v_readfirstlane_b32 s12, v38
	v_readfirstlane_b32 s13, v39
	s_and_b64 s[12:13], s[12:13], s[10:11]
	s_mul_i32 s17, s13, 24
	s_mul_hi_u32 s18, s12, 24
	s_mul_i32 s19, s12, 24
	s_add_i32 s18, s18, s17
	s_waitcnt vmcnt(0)
	v_add_co_u32 v4, vcc_lo, v26, s19
	v_add_co_ci_u32_e64 v5, null, s18, v27, vcc_lo
	s_and_saveexec_b32 s17, s4
	s_cbranch_execz .LBB1_344
; %bb.343:                              ;   in Loop: Header=BB1_280 Depth=1
	v_mov_b32_e32 v10, s5
	global_store_dwordx4 v[4:5], v[10:13], off offset:8
.LBB1_344:                              ;   in Loop: Header=BB1_280 Depth=1
	s_or_b32 exec_lo, exec_lo, s17
	v_cmp_gt_u64_e32 vcc_lo, 57, v[30:31]
	s_lshl_b64 s[12:13], s[12:13], 12
	v_and_b32_e32 v0, 0xffffff1f, v0
	v_lshl_add_u32 v35, v32, 2, 28
	v_cndmask_b32_e32 v10, 0, v34, vcc_lo
	v_add_co_u32 v28, vcc_lo, v28, s12
	v_add_co_ci_u32_e64 v29, null, s13, v29, vcc_lo
	v_or_b32_e32 v0, v0, v10
	v_readfirstlane_b32 s12, v28
	v_readfirstlane_b32 s13, v29
	v_and_or_b32 v0, 0x1e0, v35, v0
	global_store_dwordx4 v37, v[14:17], s[12:13] offset:16
	global_store_dwordx4 v37, v[18:21], s[12:13] offset:32
	global_store_dwordx4 v37, v[0:3], s[12:13]
	global_store_dwordx4 v37, v[22:25], s[12:13] offset:48
	s_and_saveexec_b32 s5, s4
	s_cbranch_execz .LBB1_352
; %bb.345:                              ;   in Loop: Header=BB1_280 Depth=1
	s_clause 0x1
	global_load_dwordx2 v[18:19], v11, s[6:7] offset:32 glc dlc
	global_load_dwordx2 v[0:1], v11, s[6:7] offset:40
	v_mov_b32_e32 v16, s10
	v_mov_b32_e32 v17, s11
	s_waitcnt vmcnt(0)
	v_readfirstlane_b32 s12, v0
	v_readfirstlane_b32 s13, v1
	s_and_b64 s[12:13], s[12:13], s[10:11]
	s_mul_i32 s13, s13, 24
	s_mul_hi_u32 s17, s12, 24
	s_mul_i32 s12, s12, 24
	s_add_i32 s17, s17, s13
	v_add_co_u32 v14, vcc_lo, v26, s12
	v_add_co_ci_u32_e64 v15, null, s17, v27, vcc_lo
	s_mov_b32 s12, exec_lo
	global_store_dwordx2 v[14:15], v[18:19], off
	s_waitcnt_vscnt null, 0x0
	global_atomic_cmpswap_x2 v[2:3], v11, v[16:19], s[6:7] offset:32 glc
	s_waitcnt vmcnt(0)
	v_cmpx_ne_u64_e64 v[2:3], v[18:19]
	s_cbranch_execz .LBB1_348
; %bb.346:                              ;   in Loop: Header=BB1_280 Depth=1
	s_mov_b32 s13, 0
.LBB1_347:                              ;   Parent Loop BB1_280 Depth=1
                                        ; =>  This Inner Loop Header: Depth=2
	v_mov_b32_e32 v0, s10
	v_mov_b32_e32 v1, s11
	s_sleep 1
	global_store_dwordx2 v[14:15], v[2:3], off
	s_waitcnt_vscnt null, 0x0
	global_atomic_cmpswap_x2 v[0:1], v11, v[0:3], s[6:7] offset:32 glc
	s_waitcnt vmcnt(0)
	v_cmp_eq_u64_e32 vcc_lo, v[0:1], v[2:3]
	v_mov_b32_e32 v3, v1
	v_mov_b32_e32 v2, v0
	s_or_b32 s13, vcc_lo, s13
	s_andn2_b32 exec_lo, exec_lo, s13
	s_cbranch_execnz .LBB1_347
.LBB1_348:                              ;   in Loop: Header=BB1_280 Depth=1
	s_or_b32 exec_lo, exec_lo, s12
	global_load_dwordx2 v[0:1], v11, s[6:7] offset:16
	s_mov_b32 s13, exec_lo
	s_mov_b32 s12, exec_lo
	v_mbcnt_lo_u32_b32 v2, s13, 0
	v_cmpx_eq_u32_e32 0, v2
	s_cbranch_execz .LBB1_350
; %bb.349:                              ;   in Loop: Header=BB1_280 Depth=1
	s_bcnt1_i32_b32 s13, s13
	v_mov_b32_e32 v10, s13
	s_waitcnt vmcnt(0)
	global_atomic_add_x2 v[0:1], v[10:11], off offset:8
.LBB1_350:                              ;   in Loop: Header=BB1_280 Depth=1
	s_or_b32 exec_lo, exec_lo, s12
	s_waitcnt vmcnt(0)
	global_load_dwordx2 v[2:3], v[0:1], off offset:16
	s_waitcnt vmcnt(0)
	v_cmp_eq_u64_e32 vcc_lo, 0, v[2:3]
	s_cbranch_vccnz .LBB1_352
; %bb.351:                              ;   in Loop: Header=BB1_280 Depth=1
	global_load_dword v10, v[0:1], off offset:24
	s_waitcnt vmcnt(0)
	v_readfirstlane_b32 s12, v10
	s_waitcnt_vscnt null, 0x0
	global_store_dwordx2 v[2:3], v[10:11], off
	s_and_b32 m0, s12, 0x7fffff
	s_sendmsg sendmsg(MSG_INTERRUPT)
.LBB1_352:                              ;   in Loop: Header=BB1_280 Depth=1
	s_or_b32 exec_lo, exec_lo, s5
	v_add_co_u32 v0, vcc_lo, v28, v37
	v_add_co_ci_u32_e64 v1, null, 0, v29, vcc_lo
	s_branch .LBB1_356
	.p2align	6
.LBB1_353:                              ;   in Loop: Header=BB1_356 Depth=2
	s_or_b32 exec_lo, exec_lo, s5
	v_readfirstlane_b32 s5, v2
	s_cmp_eq_u32 s5, 0
	s_cbranch_scc1 .LBB1_355
; %bb.354:                              ;   in Loop: Header=BB1_356 Depth=2
	s_sleep 1
	s_cbranch_execnz .LBB1_356
	s_branch .LBB1_358
	.p2align	6
.LBB1_355:                              ;   in Loop: Header=BB1_280 Depth=1
	s_branch .LBB1_358
.LBB1_356:                              ;   Parent Loop BB1_280 Depth=1
                                        ; =>  This Inner Loop Header: Depth=2
	v_mov_b32_e32 v2, 1
	s_and_saveexec_b32 s5, s4
	s_cbranch_execz .LBB1_353
; %bb.357:                              ;   in Loop: Header=BB1_356 Depth=2
	global_load_dword v2, v[4:5], off offset:20 glc dlc
	s_waitcnt vmcnt(0)
	buffer_gl1_inv
	buffer_gl0_inv
	v_and_b32_e32 v2, 1, v2
	s_branch .LBB1_353
.LBB1_358:                              ;   in Loop: Header=BB1_280 Depth=1
	global_load_dwordx2 v[0:1], v[0:1], off
	s_and_saveexec_b32 s12, s4
	s_cbranch_execz .LBB1_279
; %bb.359:                              ;   in Loop: Header=BB1_280 Depth=1
	s_clause 0x2
	global_load_dwordx2 v[2:3], v11, s[6:7] offset:40
	global_load_dwordx2 v[18:19], v11, s[6:7] offset:24 glc dlc
	global_load_dwordx2 v[4:5], v11, s[6:7]
	s_waitcnt vmcnt(2)
	v_readfirstlane_b32 s18, v2
	v_readfirstlane_b32 s19, v3
	s_add_u32 s13, s18, 1
	s_addc_u32 s17, s19, 0
	s_add_u32 s4, s13, s10
	s_addc_u32 s5, s17, s11
	s_cmp_eq_u64 s[4:5], 0
	s_cselect_b32 s5, s17, s5
	s_cselect_b32 s4, s13, s4
	v_mov_b32_e32 v17, s5
	s_and_b64 s[10:11], s[4:5], s[18:19]
	v_mov_b32_e32 v16, s4
	s_mul_i32 s11, s11, 24
	s_mul_hi_u32 s13, s10, 24
	s_mul_i32 s10, s10, 24
	s_add_i32 s13, s13, s11
	s_waitcnt vmcnt(0)
	v_add_co_u32 v14, vcc_lo, v4, s10
	v_add_co_ci_u32_e64 v15, null, s13, v5, vcc_lo
	global_store_dwordx2 v[14:15], v[18:19], off
	s_waitcnt_vscnt null, 0x0
	global_atomic_cmpswap_x2 v[4:5], v11, v[16:19], s[6:7] offset:24 glc
	s_waitcnt vmcnt(0)
	v_cmp_ne_u64_e32 vcc_lo, v[4:5], v[18:19]
	s_and_b32 exec_lo, exec_lo, vcc_lo
	s_cbranch_execz .LBB1_279
; %bb.360:                              ;   in Loop: Header=BB1_280 Depth=1
	s_mov_b32 s10, 0
.LBB1_361:                              ;   Parent Loop BB1_280 Depth=1
                                        ; =>  This Inner Loop Header: Depth=2
	v_mov_b32_e32 v2, s4
	v_mov_b32_e32 v3, s5
	s_sleep 1
	global_store_dwordx2 v[14:15], v[4:5], off
	s_waitcnt_vscnt null, 0x0
	global_atomic_cmpswap_x2 v[2:3], v11, v[2:5], s[6:7] offset:24 glc
	s_waitcnt vmcnt(0)
	v_cmp_eq_u64_e32 vcc_lo, v[2:3], v[4:5]
	v_mov_b32_e32 v5, v3
	v_mov_b32_e32 v4, v2
	s_or_b32 s10, vcc_lo, s10
	s_andn2_b32 exec_lo, exec_lo, s10
	s_cbranch_execnz .LBB1_361
	s_branch .LBB1_279
.LBB1_362:
	s_or_b32 exec_lo, exec_lo, s15
                                        ; implicit-def: $vgpr37
                                        ; implicit-def: $vgpr36
.LBB1_363:
	s_andn2_saveexec_b32 s14, s14
	s_cbranch_execz .LBB1_391
; %bb.364:
	v_readfirstlane_b32 s4, v36
	v_mov_b32_e32 v10, 0
	v_mov_b32_e32 v11, 0
	v_cmp_eq_u32_e64 s4, s4, v36
	s_and_saveexec_b32 s5, s4
	s_cbranch_execz .LBB1_370
; %bb.365:
	v_mov_b32_e32 v2, 0
	s_mov_b32 s10, exec_lo
	global_load_dwordx2 v[5:6], v2, s[6:7] offset:24 glc dlc
	s_waitcnt vmcnt(0)
	buffer_gl1_inv
	buffer_gl0_inv
	s_clause 0x1
	global_load_dwordx2 v[3:4], v2, s[6:7] offset:40
	global_load_dwordx2 v[10:11], v2, s[6:7]
	s_waitcnt vmcnt(1)
	v_and_b32_e32 v4, v4, v6
	v_and_b32_e32 v3, v3, v5
	v_mul_lo_u32 v4, v4, 24
	v_mul_hi_u32 v7, v3, 24
	v_mul_lo_u32 v3, v3, 24
	v_add_nc_u32_e32 v4, v7, v4
	s_waitcnt vmcnt(0)
	v_add_co_u32 v3, vcc_lo, v10, v3
	v_add_co_ci_u32_e64 v4, null, v11, v4, vcc_lo
	global_load_dwordx2 v[3:4], v[3:4], off glc dlc
	s_waitcnt vmcnt(0)
	global_atomic_cmpswap_x2 v[10:11], v2, v[3:6], s[6:7] offset:24 glc
	s_waitcnt vmcnt(0)
	buffer_gl1_inv
	buffer_gl0_inv
	v_cmpx_ne_u64_e64 v[10:11], v[5:6]
	s_cbranch_execz .LBB1_369
; %bb.366:
	s_mov_b32 s11, 0
	.p2align	6
.LBB1_367:                              ; =>This Inner Loop Header: Depth=1
	s_sleep 1
	s_clause 0x1
	global_load_dwordx2 v[3:4], v2, s[6:7] offset:40
	global_load_dwordx2 v[12:13], v2, s[6:7]
	v_mov_b32_e32 v5, v10
	v_mov_b32_e32 v6, v11
	s_waitcnt vmcnt(1)
	v_and_b32_e32 v3, v3, v5
	v_and_b32_e32 v4, v4, v6
	s_waitcnt vmcnt(0)
	v_mad_u64_u32 v[10:11], null, v3, 24, v[12:13]
	v_mov_b32_e32 v3, v11
	v_mad_u64_u32 v[3:4], null, v4, 24, v[3:4]
	v_mov_b32_e32 v11, v3
	global_load_dwordx2 v[3:4], v[10:11], off glc dlc
	s_waitcnt vmcnt(0)
	global_atomic_cmpswap_x2 v[10:11], v2, v[3:6], s[6:7] offset:24 glc
	s_waitcnt vmcnt(0)
	buffer_gl1_inv
	buffer_gl0_inv
	v_cmp_eq_u64_e32 vcc_lo, v[10:11], v[5:6]
	s_or_b32 s11, vcc_lo, s11
	s_andn2_b32 exec_lo, exec_lo, s11
	s_cbranch_execnz .LBB1_367
; %bb.368:
	s_or_b32 exec_lo, exec_lo, s11
.LBB1_369:
	s_or_b32 exec_lo, exec_lo, s10
.LBB1_370:
	s_or_b32 exec_lo, exec_lo, s5
	v_mov_b32_e32 v2, 0
	v_readfirstlane_b32 s11, v11
	v_readfirstlane_b32 s10, v10
	s_mov_b32 s5, exec_lo
	s_clause 0x1
	global_load_dwordx2 v[12:13], v2, s[6:7] offset:40
	global_load_dwordx4 v[4:7], v2, s[6:7]
	s_waitcnt vmcnt(1)
	v_readfirstlane_b32 s12, v12
	v_readfirstlane_b32 s13, v13
	s_and_b64 s[12:13], s[12:13], s[10:11]
	s_mul_i32 s15, s13, 24
	s_mul_hi_u32 s16, s12, 24
	s_mul_i32 s17, s12, 24
	s_add_i32 s16, s16, s15
	s_waitcnt vmcnt(0)
	v_add_co_u32 v10, vcc_lo, v4, s17
	v_add_co_ci_u32_e64 v11, null, s16, v5, vcc_lo
	s_and_saveexec_b32 s15, s4
	s_cbranch_execz .LBB1_372
; %bb.371:
	v_mov_b32_e32 v12, s5
	v_mov_b32_e32 v13, v2
	;; [unrolled: 1-line block ×4, first 2 shown]
	global_store_dwordx4 v[10:11], v[12:15], off offset:8
.LBB1_372:
	s_or_b32 exec_lo, exec_lo, s15
	s_lshl_b64 s[12:13], s[12:13], 12
	s_mov_b32 s16, 0
	v_add_co_u32 v6, vcc_lo, v6, s12
	v_add_co_ci_u32_e64 v7, null, s13, v7, vcc_lo
	s_mov_b32 s17, s16
	v_readfirstlane_b32 s12, v6
	v_add_co_u32 v6, vcc_lo, v6, v37
	s_mov_b32 s18, s16
	s_mov_b32 s19, s16
	v_and_or_b32 v0, 0xffffff1f, v0, 32
	v_mov_b32_e32 v3, v2
	v_readfirstlane_b32 s13, v7
	v_mov_b32_e32 v12, s16
	v_add_co_ci_u32_e64 v7, null, 0, v7, vcc_lo
	v_mov_b32_e32 v13, s17
	v_mov_b32_e32 v14, s18
	;; [unrolled: 1-line block ×3, first 2 shown]
	global_store_dwordx4 v37, v[0:3], s[12:13]
	global_store_dwordx4 v37, v[12:15], s[12:13] offset:16
	global_store_dwordx4 v37, v[12:15], s[12:13] offset:32
	;; [unrolled: 1-line block ×3, first 2 shown]
	s_and_saveexec_b32 s5, s4
	s_cbranch_execz .LBB1_380
; %bb.373:
	v_mov_b32_e32 v12, 0
	v_mov_b32_e32 v13, s10
	;; [unrolled: 1-line block ×3, first 2 shown]
	s_clause 0x1
	global_load_dwordx2 v[15:16], v12, s[6:7] offset:32 glc dlc
	global_load_dwordx2 v[0:1], v12, s[6:7] offset:40
	s_waitcnt vmcnt(0)
	v_readfirstlane_b32 s12, v0
	v_readfirstlane_b32 s13, v1
	s_and_b64 s[12:13], s[12:13], s[10:11]
	s_mul_i32 s13, s13, 24
	s_mul_hi_u32 s15, s12, 24
	s_mul_i32 s12, s12, 24
	s_add_i32 s15, s15, s13
	v_add_co_u32 v4, vcc_lo, v4, s12
	v_add_co_ci_u32_e64 v5, null, s15, v5, vcc_lo
	s_mov_b32 s12, exec_lo
	global_store_dwordx2 v[4:5], v[15:16], off
	s_waitcnt_vscnt null, 0x0
	global_atomic_cmpswap_x2 v[2:3], v12, v[13:16], s[6:7] offset:32 glc
	s_waitcnt vmcnt(0)
	v_cmpx_ne_u64_e64 v[2:3], v[15:16]
	s_cbranch_execz .LBB1_376
; %bb.374:
	s_mov_b32 s13, 0
.LBB1_375:                              ; =>This Inner Loop Header: Depth=1
	v_mov_b32_e32 v0, s10
	v_mov_b32_e32 v1, s11
	s_sleep 1
	global_store_dwordx2 v[4:5], v[2:3], off
	s_waitcnt_vscnt null, 0x0
	global_atomic_cmpswap_x2 v[0:1], v12, v[0:3], s[6:7] offset:32 glc
	s_waitcnt vmcnt(0)
	v_cmp_eq_u64_e32 vcc_lo, v[0:1], v[2:3]
	v_mov_b32_e32 v3, v1
	v_mov_b32_e32 v2, v0
	s_or_b32 s13, vcc_lo, s13
	s_andn2_b32 exec_lo, exec_lo, s13
	s_cbranch_execnz .LBB1_375
.LBB1_376:
	s_or_b32 exec_lo, exec_lo, s12
	v_mov_b32_e32 v3, 0
	s_mov_b32 s13, exec_lo
	s_mov_b32 s12, exec_lo
	v_mbcnt_lo_u32_b32 v2, s13, 0
	global_load_dwordx2 v[0:1], v3, s[6:7] offset:16
	v_cmpx_eq_u32_e32 0, v2
	s_cbranch_execz .LBB1_378
; %bb.377:
	s_bcnt1_i32_b32 s13, s13
	v_mov_b32_e32 v2, s13
	s_waitcnt vmcnt(0)
	global_atomic_add_x2 v[0:1], v[2:3], off offset:8
.LBB1_378:
	s_or_b32 exec_lo, exec_lo, s12
	s_waitcnt vmcnt(0)
	global_load_dwordx2 v[2:3], v[0:1], off offset:16
	s_waitcnt vmcnt(0)
	v_cmp_eq_u64_e32 vcc_lo, 0, v[2:3]
	s_cbranch_vccnz .LBB1_380
; %bb.379:
	global_load_dword v0, v[0:1], off offset:24
	v_mov_b32_e32 v1, 0
	s_waitcnt vmcnt(0)
	v_readfirstlane_b32 s12, v0
	s_waitcnt_vscnt null, 0x0
	global_store_dwordx2 v[2:3], v[0:1], off
	s_and_b32 m0, s12, 0x7fffff
	s_sendmsg sendmsg(MSG_INTERRUPT)
.LBB1_380:
	s_or_b32 exec_lo, exec_lo, s5
	s_branch .LBB1_384
	.p2align	6
.LBB1_381:                              ;   in Loop: Header=BB1_384 Depth=1
	s_or_b32 exec_lo, exec_lo, s5
	v_readfirstlane_b32 s5, v0
	s_cmp_eq_u32 s5, 0
	s_cbranch_scc1 .LBB1_383
; %bb.382:                              ;   in Loop: Header=BB1_384 Depth=1
	s_sleep 1
	s_cbranch_execnz .LBB1_384
	s_branch .LBB1_386
	.p2align	6
.LBB1_383:
	s_branch .LBB1_386
.LBB1_384:                              ; =>This Inner Loop Header: Depth=1
	v_mov_b32_e32 v0, 1
	s_and_saveexec_b32 s5, s4
	s_cbranch_execz .LBB1_381
; %bb.385:                              ;   in Loop: Header=BB1_384 Depth=1
	global_load_dword v0, v[10:11], off offset:20 glc dlc
	s_waitcnt vmcnt(0)
	buffer_gl1_inv
	buffer_gl0_inv
	v_and_b32_e32 v0, 1, v0
	s_branch .LBB1_381
.LBB1_386:
	global_load_dwordx2 v[0:1], v[6:7], off
	s_and_saveexec_b32 s12, s4
	s_cbranch_execz .LBB1_390
; %bb.387:
	v_mov_b32_e32 v10, 0
	s_clause 0x2
	global_load_dwordx2 v[2:3], v10, s[6:7] offset:40
	global_load_dwordx2 v[13:14], v10, s[6:7] offset:24 glc dlc
	global_load_dwordx2 v[4:5], v10, s[6:7]
	s_waitcnt vmcnt(2)
	v_readfirstlane_b32 s16, v2
	v_readfirstlane_b32 s17, v3
	s_add_u32 s13, s16, 1
	s_addc_u32 s15, s17, 0
	s_add_u32 s4, s13, s10
	s_addc_u32 s5, s15, s11
	s_cmp_eq_u64 s[4:5], 0
	s_cselect_b32 s5, s15, s5
	s_cselect_b32 s4, s13, s4
	v_mov_b32_e32 v12, s5
	s_and_b64 s[10:11], s[4:5], s[16:17]
	v_mov_b32_e32 v11, s4
	s_mul_i32 s11, s11, 24
	s_mul_hi_u32 s13, s10, 24
	s_mul_i32 s10, s10, 24
	s_add_i32 s13, s13, s11
	s_waitcnt vmcnt(0)
	v_add_co_u32 v6, vcc_lo, v4, s10
	v_add_co_ci_u32_e64 v7, null, s13, v5, vcc_lo
	global_store_dwordx2 v[6:7], v[13:14], off
	s_waitcnt_vscnt null, 0x0
	global_atomic_cmpswap_x2 v[4:5], v10, v[11:14], s[6:7] offset:24 glc
	s_waitcnt vmcnt(0)
	v_cmp_ne_u64_e32 vcc_lo, v[4:5], v[13:14]
	s_and_b32 exec_lo, exec_lo, vcc_lo
	s_cbranch_execz .LBB1_390
; %bb.388:
	s_mov_b32 s10, 0
.LBB1_389:                              ; =>This Inner Loop Header: Depth=1
	v_mov_b32_e32 v2, s4
	v_mov_b32_e32 v3, s5
	s_sleep 1
	global_store_dwordx2 v[6:7], v[4:5], off
	s_waitcnt_vscnt null, 0x0
	global_atomic_cmpswap_x2 v[2:3], v10, v[2:5], s[6:7] offset:24 glc
	s_waitcnt vmcnt(0)
	v_cmp_eq_u64_e32 vcc_lo, v[2:3], v[4:5]
	v_mov_b32_e32 v5, v3
	v_mov_b32_e32 v4, v2
	s_or_b32 s10, vcc_lo, s10
	s_andn2_b32 exec_lo, exec_lo, s10
	s_cbranch_execnz .LBB1_389
.LBB1_390:
	s_or_b32 exec_lo, exec_lo, s12
.LBB1_391:
	s_or_b32 exec_lo, exec_lo, s14
	v_mov_b32_e32 v2, v8
	v_mov_b32_e32 v3, v9
	s_mov_b32 s4, 0
.LBB1_392:                              ; =>This Inner Loop Header: Depth=1
	global_load_ubyte v6, v[2:3], off
	v_add_co_u32 v4, vcc_lo, v2, 1
	v_add_co_ci_u32_e64 v5, null, 0, v3, vcc_lo
	v_mov_b32_e32 v2, v4
	v_mov_b32_e32 v3, v5
	s_waitcnt vmcnt(0)
	v_cmp_eq_u16_e32 vcc_lo, 0, v6
	s_or_b32 s4, vcc_lo, s4
	s_andn2_b32 exec_lo, exec_lo, s4
	s_cbranch_execnz .LBB1_392
; %bb.393:
	s_or_b32 exec_lo, exec_lo, s4
	v_sub_nc_u32_e32 v4, v4, v8
	v_mov_b32_e32 v2, v8
	v_mov_b32_e32 v3, v9
	;; [unrolled: 1-line block ×3, first 2 shown]
	s_getpc_b64 s[4:5]
	s_add_u32 s4, s4, __ockl_fprintf_append_string_n@rel32@lo+4
	s_addc_u32 s5, s5, __ockl_fprintf_append_string_n@rel32@hi+12
	v_ashrrev_i32_e32 v5, 31, v4
	s_swappc_b64 s[30:31], s[4:5]
	s_trap 2
.Lfunc_end1:
	.size	__assert_fail, .Lfunc_end1-__assert_fail
                                        ; -- End function
	.set .L__assert_fail.num_vgpr, max(50, .L__ockl_fprintf_append_string_n.num_vgpr)
	.set .L__assert_fail.num_agpr, max(0, .L__ockl_fprintf_append_string_n.num_agpr)
	.set .L__assert_fail.numbered_sgpr, max(34, .L__ockl_fprintf_append_string_n.numbered_sgpr)
	.set .L__assert_fail.num_named_barrier, max(0, .L__ockl_fprintf_append_string_n.num_named_barrier)
	.set .L__assert_fail.private_seg_size, 64+max(.L__ockl_fprintf_append_string_n.private_seg_size)
	.set .L__assert_fail.uses_vcc, or(1, .L__ockl_fprintf_append_string_n.uses_vcc)
	.set .L__assert_fail.uses_flat_scratch, or(0, .L__ockl_fprintf_append_string_n.uses_flat_scratch)
	.set .L__assert_fail.has_dyn_sized_stack, or(0, .L__ockl_fprintf_append_string_n.has_dyn_sized_stack)
	.set .L__assert_fail.has_recursion, or(0, .L__ockl_fprintf_append_string_n.has_recursion)
	.set .L__assert_fail.has_indirect_call, or(0, .L__ockl_fprintf_append_string_n.has_indirect_call)
	.section	.AMDGPU.csdata,"",@progbits
; Function info:
; codeLenInByte = 15452
; TotalNumSgprs: 36
; NumVgprs: 50
; ScratchSize: 64
; MemoryBound: 0
	.text
	.protected	_Z16AssertPassKernelPi  ; -- Begin function _Z16AssertPassKernelPi
	.globl	_Z16AssertPassKernelPi
	.p2align	8
	.type	_Z16AssertPassKernelPi,@function
_Z16AssertPassKernelPi:                 ; @_Z16AssertPassKernelPi
; %bb.0:
	s_add_u32 s6, s6, s9
	s_mov_b32 s32, 0
	s_addc_u32 s7, s7, 0
	s_setreg_b32 hwreg(HW_REG_FLAT_SCR_LO), s6
	s_setreg_b32 hwreg(HW_REG_FLAT_SCR_HI), s7
	s_add_u32 s0, s0, s9
	s_clause 0x1
	s_load_dword s9, s[4:5], 0x14
	s_load_dwordx2 s[6:7], s[4:5], 0x0
	s_addc_u32 s1, s1, 0
	s_waitcnt lgkmcnt(0)
	s_and_b32 s9, s9, 0xffff
	v_mad_u64_u32 v[0:1], null, s8, s9, v[0:1]
	v_mov_b32_e32 v1, 0
	global_store_dword v1, v0, s[6:7]
	s_mov_b32 s6, exec_lo
	v_cmpx_gt_i32_e32 0, v0
	s_cbranch_execz .LBB2_2
; %bb.1:
	s_add_u32 s8, s4, 8
	s_addc_u32 s9, s5, 0
	s_getpc_b64 s[4:5]
	s_add_u32 s4, s4, .str@rel32@lo+4
	s_addc_u32 s5, s5, .str@rel32@hi+12
	s_getpc_b64 s[6:7]
	s_add_u32 s6, s6, __PRETTY_FUNCTION__._Z16AssertPassKernelPi@rel32@lo+4
	s_addc_u32 s7, s7, __PRETTY_FUNCTION__._Z16AssertPassKernelPi@rel32@hi+12
	v_mov_b32_e32 v0, s4
	v_mov_b32_e32 v1, s5
	;; [unrolled: 1-line block ×5, first 2 shown]
	s_getpc_b64 s[10:11]
	s_add_u32 s10, s10, __assert_fail@rel32@lo+4
	s_addc_u32 s11, s11, __assert_fail@rel32@hi+12
	s_swappc_b64 s[30:31], s[10:11]
	; divergent unreachable
.LBB2_2:
	s_endpgm
	.section	.rodata,"a",@progbits
	.p2align	6, 0x0
	.amdhsa_kernel _Z16AssertPassKernelPi
		.amdhsa_group_segment_fixed_size 0
		.amdhsa_private_segment_fixed_size 64
		.amdhsa_kernarg_size 264
		.amdhsa_user_sgpr_count 8
		.amdhsa_user_sgpr_private_segment_buffer 1
		.amdhsa_user_sgpr_dispatch_ptr 0
		.amdhsa_user_sgpr_queue_ptr 0
		.amdhsa_user_sgpr_kernarg_segment_ptr 1
		.amdhsa_user_sgpr_dispatch_id 0
		.amdhsa_user_sgpr_flat_scratch_init 1
		.amdhsa_user_sgpr_private_segment_size 0
		.amdhsa_wavefront_size32 1
		.amdhsa_uses_dynamic_stack 0
		.amdhsa_system_sgpr_private_segment_wavefront_offset 1
		.amdhsa_system_sgpr_workgroup_id_x 1
		.amdhsa_system_sgpr_workgroup_id_y 0
		.amdhsa_system_sgpr_workgroup_id_z 0
		.amdhsa_system_sgpr_workgroup_info 0
		.amdhsa_system_vgpr_workitem_id 0
		.amdhsa_next_free_vgpr 50
		.amdhsa_next_free_sgpr 34
		.amdhsa_reserve_vcc 1
		.amdhsa_reserve_flat_scratch 1
		.amdhsa_float_round_mode_32 0
		.amdhsa_float_round_mode_16_64 0
		.amdhsa_float_denorm_mode_32 3
		.amdhsa_float_denorm_mode_16_64 3
		.amdhsa_dx10_clamp 1
		.amdhsa_ieee_mode 1
		.amdhsa_fp16_overflow 0
		.amdhsa_workgroup_processor_mode 1
		.amdhsa_memory_ordered 1
		.amdhsa_forward_progress 1
		.amdhsa_shared_vgpr_count 0
		.amdhsa_exception_fp_ieee_invalid_op 0
		.amdhsa_exception_fp_denorm_src 0
		.amdhsa_exception_fp_ieee_div_zero 0
		.amdhsa_exception_fp_ieee_overflow 0
		.amdhsa_exception_fp_ieee_underflow 0
		.amdhsa_exception_fp_ieee_inexact 0
		.amdhsa_exception_int_div_zero 0
	.end_amdhsa_kernel
	.text
.Lfunc_end2:
	.size	_Z16AssertPassKernelPi, .Lfunc_end2-_Z16AssertPassKernelPi
                                        ; -- End function
	.set _Z16AssertPassKernelPi.num_vgpr, max(5, .L__assert_fail.num_vgpr)
	.set _Z16AssertPassKernelPi.num_agpr, max(0, .L__assert_fail.num_agpr)
	.set _Z16AssertPassKernelPi.numbered_sgpr, max(33, .L__assert_fail.numbered_sgpr)
	.set _Z16AssertPassKernelPi.num_named_barrier, max(0, .L__assert_fail.num_named_barrier)
	.set _Z16AssertPassKernelPi.private_seg_size, 0+max(.L__assert_fail.private_seg_size)
	.set _Z16AssertPassKernelPi.uses_vcc, or(1, .L__assert_fail.uses_vcc)
	.set _Z16AssertPassKernelPi.uses_flat_scratch, or(1, .L__assert_fail.uses_flat_scratch)
	.set _Z16AssertPassKernelPi.has_dyn_sized_stack, or(0, .L__assert_fail.has_dyn_sized_stack)
	.set _Z16AssertPassKernelPi.has_recursion, or(0, .L__assert_fail.has_recursion)
	.set _Z16AssertPassKernelPi.has_indirect_call, or(0, .L__assert_fail.has_indirect_call)
	.section	.AMDGPU.csdata,"",@progbits
; Kernel info:
; codeLenInByte = 188
; TotalNumSgprs: 36
; NumVgprs: 50
; ScratchSize: 64
; MemoryBound: 0
; FloatMode: 240
; IeeeMode: 1
; LDSByteSize: 0 bytes/workgroup (compile time only)
; SGPRBlocks: 0
; VGPRBlocks: 6
; NumSGPRsForWavesPerEU: 36
; NumVGPRsForWavesPerEU: 50
; Occupancy: 16
; WaveLimiterHint : 1
; COMPUTE_PGM_RSRC2:SCRATCH_EN: 1
; COMPUTE_PGM_RSRC2:USER_SGPR: 8
; COMPUTE_PGM_RSRC2:TRAP_HANDLER: 0
; COMPUTE_PGM_RSRC2:TGID_X_EN: 1
; COMPUTE_PGM_RSRC2:TGID_Y_EN: 0
; COMPUTE_PGM_RSRC2:TGID_Z_EN: 0
; COMPUTE_PGM_RSRC2:TIDIG_COMP_CNT: 0
	.text
	.protected	_Z16AssertFailKernelPi  ; -- Begin function _Z16AssertFailKernelPi
	.globl	_Z16AssertFailKernelPi
	.p2align	8
	.type	_Z16AssertFailKernelPi,@function
_Z16AssertFailKernelPi:                 ; @_Z16AssertFailKernelPi
; %bb.0:
	s_add_u32 s6, s6, s9
	s_mov_b32 s32, 0
	s_addc_u32 s7, s7, 0
	s_setreg_b32 hwreg(HW_REG_FLAT_SCR_LO), s6
	s_setreg_b32 hwreg(HW_REG_FLAT_SCR_HI), s7
	s_add_u32 s0, s0, s9
	s_clause 0x1
	s_load_dword s9, s[4:5], 0x14
	s_load_dwordx2 s[6:7], s[4:5], 0x0
	s_addc_u32 s1, s1, 0
	v_mov_b32_e32 v2, 0
	s_waitcnt lgkmcnt(0)
	s_and_b32 s9, s9, 0xffff
	v_mad_u64_u32 v[0:1], null, s8, s9, v[0:1]
	v_and_b32_e32 v1, 0x80000001, v0
	global_store_dword v2, v0, s[6:7]
	s_mov_b32 s6, exec_lo
	v_cmpx_ne_u32_e32 1, v1
	s_cbranch_execz .LBB3_2
; %bb.1:
	s_add_u32 s8, s4, 8
	s_addc_u32 s9, s5, 0
	s_getpc_b64 s[4:5]
	s_add_u32 s4, s4, .str.2@rel32@lo+4
	s_addc_u32 s5, s5, .str.2@rel32@hi+12
	s_getpc_b64 s[6:7]
	s_add_u32 s6, s6, __PRETTY_FUNCTION__._Z16AssertFailKernelPi@rel32@lo+4
	s_addc_u32 s7, s7, __PRETTY_FUNCTION__._Z16AssertFailKernelPi@rel32@hi+12
	v_mov_b32_e32 v0, s4
	v_mov_b32_e32 v1, s5
	;; [unrolled: 1-line block ×5, first 2 shown]
	s_getpc_b64 s[10:11]
	s_add_u32 s10, s10, __assert_fail@rel32@lo+4
	s_addc_u32 s11, s11, __assert_fail@rel32@hi+12
	s_swappc_b64 s[30:31], s[10:11]
	; divergent unreachable
.LBB3_2:
	s_endpgm
	.section	.rodata,"a",@progbits
	.p2align	6, 0x0
	.amdhsa_kernel _Z16AssertFailKernelPi
		.amdhsa_group_segment_fixed_size 0
		.amdhsa_private_segment_fixed_size 64
		.amdhsa_kernarg_size 264
		.amdhsa_user_sgpr_count 8
		.amdhsa_user_sgpr_private_segment_buffer 1
		.amdhsa_user_sgpr_dispatch_ptr 0
		.amdhsa_user_sgpr_queue_ptr 0
		.amdhsa_user_sgpr_kernarg_segment_ptr 1
		.amdhsa_user_sgpr_dispatch_id 0
		.amdhsa_user_sgpr_flat_scratch_init 1
		.amdhsa_user_sgpr_private_segment_size 0
		.amdhsa_wavefront_size32 1
		.amdhsa_uses_dynamic_stack 0
		.amdhsa_system_sgpr_private_segment_wavefront_offset 1
		.amdhsa_system_sgpr_workgroup_id_x 1
		.amdhsa_system_sgpr_workgroup_id_y 0
		.amdhsa_system_sgpr_workgroup_id_z 0
		.amdhsa_system_sgpr_workgroup_info 0
		.amdhsa_system_vgpr_workitem_id 0
		.amdhsa_next_free_vgpr 50
		.amdhsa_next_free_sgpr 34
		.amdhsa_reserve_vcc 1
		.amdhsa_reserve_flat_scratch 1
		.amdhsa_float_round_mode_32 0
		.amdhsa_float_round_mode_16_64 0
		.amdhsa_float_denorm_mode_32 3
		.amdhsa_float_denorm_mode_16_64 3
		.amdhsa_dx10_clamp 1
		.amdhsa_ieee_mode 1
		.amdhsa_fp16_overflow 0
		.amdhsa_workgroup_processor_mode 1
		.amdhsa_memory_ordered 1
		.amdhsa_forward_progress 1
		.amdhsa_shared_vgpr_count 0
		.amdhsa_exception_fp_ieee_invalid_op 0
		.amdhsa_exception_fp_denorm_src 0
		.amdhsa_exception_fp_ieee_div_zero 0
		.amdhsa_exception_fp_ieee_overflow 0
		.amdhsa_exception_fp_ieee_underflow 0
		.amdhsa_exception_fp_ieee_inexact 0
		.amdhsa_exception_int_div_zero 0
	.end_amdhsa_kernel
	.text
.Lfunc_end3:
	.size	_Z16AssertFailKernelPi, .Lfunc_end3-_Z16AssertFailKernelPi
                                        ; -- End function
	.set _Z16AssertFailKernelPi.num_vgpr, max(5, .L__assert_fail.num_vgpr)
	.set _Z16AssertFailKernelPi.num_agpr, max(0, .L__assert_fail.num_agpr)
	.set _Z16AssertFailKernelPi.numbered_sgpr, max(33, .L__assert_fail.numbered_sgpr)
	.set _Z16AssertFailKernelPi.num_named_barrier, max(0, .L__assert_fail.num_named_barrier)
	.set _Z16AssertFailKernelPi.private_seg_size, 0+max(.L__assert_fail.private_seg_size)
	.set _Z16AssertFailKernelPi.uses_vcc, or(1, .L__assert_fail.uses_vcc)
	.set _Z16AssertFailKernelPi.uses_flat_scratch, or(1, .L__assert_fail.uses_flat_scratch)
	.set _Z16AssertFailKernelPi.has_dyn_sized_stack, or(0, .L__assert_fail.has_dyn_sized_stack)
	.set _Z16AssertFailKernelPi.has_recursion, or(0, .L__assert_fail.has_recursion)
	.set _Z16AssertFailKernelPi.has_indirect_call, or(0, .L__assert_fail.has_indirect_call)
	.section	.AMDGPU.csdata,"",@progbits
; Kernel info:
; codeLenInByte = 196
; TotalNumSgprs: 36
; NumVgprs: 50
; ScratchSize: 64
; MemoryBound: 0
; FloatMode: 240
; IeeeMode: 1
; LDSByteSize: 0 bytes/workgroup (compile time only)
; SGPRBlocks: 0
; VGPRBlocks: 6
; NumSGPRsForWavesPerEU: 36
; NumVGPRsForWavesPerEU: 50
; Occupancy: 16
; WaveLimiterHint : 1
; COMPUTE_PGM_RSRC2:SCRATCH_EN: 1
; COMPUTE_PGM_RSRC2:USER_SGPR: 8
; COMPUTE_PGM_RSRC2:TRAP_HANDLER: 0
; COMPUTE_PGM_RSRC2:TGID_X_EN: 1
; COMPUTE_PGM_RSRC2:TGID_Y_EN: 0
; COMPUTE_PGM_RSRC2:TGID_Z_EN: 0
; COMPUTE_PGM_RSRC2:TIDIG_COMP_CNT: 0
	.text
	.p2alignl 6, 3214868480
	.fill 48, 4, 3214868480
	.section	.AMDGPU.gpr_maximums,"",@progbits
	.set amdgpu.max_num_vgpr, 50
	.set amdgpu.max_num_agpr, 0
	.set amdgpu.max_num_sgpr, 34
	.text
	.type	__const.__assert_fail.fmt,@object ; @__const.__assert_fail.fmt
	.section	.rodata.str1.16,"aMS",@progbits,1
	.p2align	4, 0x0
__const.__assert_fail.fmt:
	.asciz	"%s:%u: %s: Device-side assertion `%s' failed.\n"
	.size	__const.__assert_fail.fmt, 47

	.type	.str,@object                    ; @.str
	.section	.rodata.str1.1,"aMS",@progbits,1
.str:
	.asciz	"tid >= 0"
	.size	.str, 9

	.type	.str.1,@object                  ; @.str.1
.str.1:
	.asciz	"/root/src/amdgpu-assembly/repos/ROCm__hip-tests/catch/unit/assertion/assert.cc"
	.size	.str.1, 79

	.type	__PRETTY_FUNCTION__._Z16AssertPassKernelPi,@object ; @__PRETTY_FUNCTION__._Z16AssertPassKernelPi
__PRETTY_FUNCTION__._Z16AssertPassKernelPi:
	.asciz	"void AssertPassKernel(int *)"
	.size	__PRETTY_FUNCTION__._Z16AssertPassKernelPi, 29

	.type	.str.2,@object                  ; @.str.2
.str.2:
	.asciz	"tid % 2 == 1"
	.size	.str.2, 13

	.type	__PRETTY_FUNCTION__._Z16AssertFailKernelPi,@object ; @__PRETTY_FUNCTION__._Z16AssertFailKernelPi
__PRETTY_FUNCTION__._Z16AssertFailKernelPi:
	.asciz	"void AssertFailKernel(int *)"
	.size	__PRETTY_FUNCTION__._Z16AssertFailKernelPi, 29

	.type	__hip_cuid_2d26230e27aa8b04,@object ; @__hip_cuid_2d26230e27aa8b04
	.section	.bss,"aw",@nobits
	.globl	__hip_cuid_2d26230e27aa8b04
__hip_cuid_2d26230e27aa8b04:
	.byte	0                               ; 0x0
	.size	__hip_cuid_2d26230e27aa8b04, 1

	.ident	"AMD clang version 22.0.0git (https://github.com/RadeonOpenCompute/llvm-project roc-7.2.4 26084 f58b06dce1f9c15707c5f808fd002e18c2accf7e)"
	.section	".note.GNU-stack","",@progbits
	.addrsig
	.addrsig_sym __hip_cuid_2d26230e27aa8b04
	.amdgpu_metadata
---
amdhsa.kernels:
  - .args:
      - .address_space:  global
        .offset:         0
        .size:           8
        .value_kind:     global_buffer
      - .offset:         8
        .size:           4
        .value_kind:     hidden_block_count_x
      - .offset:         12
        .size:           4
        .value_kind:     hidden_block_count_y
      - .offset:         16
        .size:           4
        .value_kind:     hidden_block_count_z
      - .offset:         20
        .size:           2
        .value_kind:     hidden_group_size_x
      - .offset:         22
        .size:           2
        .value_kind:     hidden_group_size_y
      - .offset:         24
        .size:           2
        .value_kind:     hidden_group_size_z
      - .offset:         26
        .size:           2
        .value_kind:     hidden_remainder_x
      - .offset:         28
        .size:           2
        .value_kind:     hidden_remainder_y
      - .offset:         30
        .size:           2
        .value_kind:     hidden_remainder_z
      - .offset:         48
        .size:           8
        .value_kind:     hidden_global_offset_x
      - .offset:         56
        .size:           8
        .value_kind:     hidden_global_offset_y
      - .offset:         64
        .size:           8
        .value_kind:     hidden_global_offset_z
      - .offset:         72
        .size:           2
        .value_kind:     hidden_grid_dims
      - .offset:         88
        .size:           8
        .value_kind:     hidden_hostcall_buffer
    .group_segment_fixed_size: 0
    .kernarg_segment_align: 8
    .kernarg_segment_size: 264
    .language:       OpenCL C
    .language_version:
      - 2
      - 0
    .max_flat_workgroup_size: 1024
    .name:           _Z16AssertPassKernelPi
    .private_segment_fixed_size: 64
    .sgpr_count:     36
    .sgpr_spill_count: 0
    .symbol:         _Z16AssertPassKernelPi.kd
    .uniform_work_group_size: 1
    .uses_dynamic_stack: false
    .vgpr_count:     50
    .vgpr_spill_count: 0
    .wavefront_size: 32
    .workgroup_processor_mode: 1
  - .args:
      - .address_space:  global
        .offset:         0
        .size:           8
        .value_kind:     global_buffer
      - .offset:         8
        .size:           4
        .value_kind:     hidden_block_count_x
      - .offset:         12
        .size:           4
        .value_kind:     hidden_block_count_y
      - .offset:         16
        .size:           4
        .value_kind:     hidden_block_count_z
      - .offset:         20
        .size:           2
        .value_kind:     hidden_group_size_x
      - .offset:         22
        .size:           2
        .value_kind:     hidden_group_size_y
      - .offset:         24
        .size:           2
        .value_kind:     hidden_group_size_z
      - .offset:         26
        .size:           2
        .value_kind:     hidden_remainder_x
      - .offset:         28
        .size:           2
        .value_kind:     hidden_remainder_y
      - .offset:         30
        .size:           2
        .value_kind:     hidden_remainder_z
      - .offset:         48
        .size:           8
        .value_kind:     hidden_global_offset_x
      - .offset:         56
        .size:           8
        .value_kind:     hidden_global_offset_y
      - .offset:         64
        .size:           8
        .value_kind:     hidden_global_offset_z
      - .offset:         72
        .size:           2
        .value_kind:     hidden_grid_dims
      - .offset:         88
        .size:           8
        .value_kind:     hidden_hostcall_buffer
    .group_segment_fixed_size: 0
    .kernarg_segment_align: 8
    .kernarg_segment_size: 264
    .language:       OpenCL C
    .language_version:
      - 2
      - 0
    .max_flat_workgroup_size: 1024
    .name:           _Z16AssertFailKernelPi
    .private_segment_fixed_size: 64
    .sgpr_count:     36
    .sgpr_spill_count: 0
    .symbol:         _Z16AssertFailKernelPi.kd
    .uniform_work_group_size: 1
    .uses_dynamic_stack: false
    .vgpr_count:     50
    .vgpr_spill_count: 0
    .wavefront_size: 32
    .workgroup_processor_mode: 1
amdhsa.target:   amdgcn-amd-amdhsa--gfx1030
amdhsa.version:
  - 1
  - 2
...

	.end_amdgpu_metadata
